;; amdgpu-corpus repo=ROCm/rocFFT kind=compiled arch=gfx1030 opt=O3
	.text
	.amdgcn_target "amdgcn-amd-amdhsa--gfx1030"
	.amdhsa_code_object_version 6
	.protected	fft_rtc_fwd_len289_factors_17_17_wgs_119_tpt_17_dp_op_CI_CI_sbrc_erc_z_xy_aligned_dirReg ; -- Begin function fft_rtc_fwd_len289_factors_17_17_wgs_119_tpt_17_dp_op_CI_CI_sbrc_erc_z_xy_aligned_dirReg
	.globl	fft_rtc_fwd_len289_factors_17_17_wgs_119_tpt_17_dp_op_CI_CI_sbrc_erc_z_xy_aligned_dirReg
	.p2align	8
	.type	fft_rtc_fwd_len289_factors_17_17_wgs_119_tpt_17_dp_op_CI_CI_sbrc_erc_z_xy_aligned_dirReg,@function
fft_rtc_fwd_len289_factors_17_17_wgs_119_tpt_17_dp_op_CI_CI_sbrc_erc_z_xy_aligned_dirReg: ; @fft_rtc_fwd_len289_factors_17_17_wgs_119_tpt_17_dp_op_CI_CI_sbrc_erc_z_xy_aligned_dirReg
; %bb.0:
	s_load_dwordx8 s[8:15], s[4:5], 0x0
	v_mov_b32_e32 v9, 0xe3
	v_add_nc_u16 v18, v0, 0xee
	v_add_nc_u16 v19, v0, 0x165
	;; [unrolled: 1-line block ×6, first 2 shown]
	v_mul_u32_u24_sdwa v11, v18, v9 dst_sel:DWORD dst_unused:UNUSED_PAD src0_sel:WORD_0 src1_sel:DWORD
	v_mul_u32_u24_sdwa v12, v19, v9 dst_sel:DWORD dst_unused:UNUSED_PAD src0_sel:WORD_0 src1_sel:DWORD
	;; [unrolled: 1-line block ×6, first 2 shown]
	v_lshrrev_b32_e32 v9, 16, v11
	v_lshrrev_b32_e32 v11, 16, v12
	v_lshrrev_b32_e32 v12, 16, v26
	v_add_nc_u16 v8, v0, 0x77
	v_add_nc_u16 v17, v0, 0x682
	v_mov_b32_e32 v29, 0
	s_waitcnt lgkmcnt(0)
	s_load_dwordx4 s[16:19], s[12:13], 0x8
	v_mul_lo_u16 v26, 0x121, v11
	v_and_b32_e32 v8, 0xffff, v8
	v_add_nc_u16 v20, v0, 0x6f9
	s_mov_b32 s7, 0
	v_mul_lo_u16 v43, 0x121, v12
	v_sub_nc_u16 v19, v19, v26
	v_lshrrev_b32_e32 v85, 16, v23
	v_lshrrev_b32_e32 v86, 16, v22
	v_mov_b32_e32 v2, 0x717
	v_sub_nc_u16 v13, v13, v43
	v_and_b32_e32 v83, 0xffff, v19
	v_add_nc_u16 v1, v0, 0x3b8
	v_mul_lo_u16 v22, 0x121, v86
	v_add_nc_u16 v3, v0, 0x42f
	v_and_b32_e32 v87, 0xffff, v13
	v_mul_lo_u16 v13, 0x121, v85
	v_add_nc_u16 v7, v0, 0x51d
	v_sub_nc_u16 v22, v4, v22
	v_add_nc_u16 v14, v0, 0x594
	s_waitcnt lgkmcnt(0)
	s_add_i32 s0, s16, -1
	v_sub_nc_u16 v5, v5, v13
	s_mul_hi_u32 s16, s0, 0x24924925
	v_and_b32_e32 v89, 0xffff, v22
	s_sub_i32 s17, s0, s16
	s_clause 0x1
	s_load_dwordx2 s[12:13], s[4:5], 0x20
	s_load_dwordx4 s[0:3], s[4:5], 0x58
	s_lshr_b32 s4, s17, 1
	v_and_b32_e32 v88, 0xffff, v5
	s_add_i32 s4, s4, s16
	v_add_nc_u16 v15, v0, 0x60b
	s_lshr_b32 s4, s4, 2
	v_add_nc_u16 v21, v0, 0x770
	s_add_i32 s5, s4, 1
	v_mul_u32_u24_sdwa v47, v7, v2 dst_sel:DWORD dst_unused:UNUSED_PAD src0_sel:WORD_0 src1_sel:DWORD
	s_mul_i32 s16, s5, s18
	v_cvt_f32_u32_e32 v25, s5
	v_cvt_f32_u32_e32 v6, s16
	s_sub_i32 s18, 0, s16
	v_mul_u32_u24_sdwa v13, v14, v2 dst_sel:DWORD dst_unused:UNUSED_PAD src0_sel:WORD_0 src1_sel:DWORD
	v_mul_u32_u24_sdwa v48, v15, v2 dst_sel:DWORD dst_unused:UNUSED_PAD src0_sel:WORD_0 src1_sel:DWORD
	v_rcp_iflag_f32_e32 v25, v25
	v_rcp_iflag_f32_e32 v10, v6
	v_add_nc_u16 v6, v0, 0x4a6
	v_mul_u32_u24_sdwa v49, v17, v2 dst_sel:DWORD dst_unused:UNUSED_PAD src0_sel:WORD_0 src1_sel:DWORD
	v_mul_u32_u24_sdwa v50, v20, v2 dst_sel:DWORD dst_unused:UNUSED_PAD src0_sel:WORD_0 src1_sel:DWORD
	;; [unrolled: 1-line block ×3, first 2 shown]
	v_lshrrev_b32_e32 v94, 19, v13
	v_mul_u32_u24_sdwa v46, v6, v2 dst_sel:DWORD dst_unused:UNUSED_PAD src0_sel:WORD_0 src1_sel:DWORD
	v_lshrrev_b32_e32 v93, 19, v47
	v_lshrrev_b32_e32 v95, 19, v48
	v_mul_f32_e32 v25, 0x4f7ffffe, v25
	v_mul_f32_e32 v10, 0x4f7ffffe, v10
	v_lshrrev_b32_e32 v92, 19, v46
	v_lshrrev_b32_e32 v96, 19, v49
	v_lshrrev_b32_e32 v98, 19, v51
	v_cvt_u32_f32_e32 v25, v25
	v_cvt_u32_f32_e32 v10, v10
	v_lshrrev_b32_e32 v97, 19, v50
	s_mov_b32 s42, 0x2a9d6da3
	s_mov_b32 s43, 0xbfe58eea
	v_readfirstlane_b32 s25, v25
	v_readfirstlane_b32 s17, v10
	v_lshrrev_b32_e32 v10, 16, v24
	v_mul_lo_u16 v24, 0x121, v9
	s_mov_b32 s46, 0x7c9e640b
	s_mov_b32 s47, 0xbfeca52d
	s_mul_i32 s18, s18, s17
	v_mul_lo_u16 v27, 0x121, v10
	s_mul_hi_u32 s18, s17, s18
	v_sub_nc_u16 v18, v18, v24
	s_add_i32 s17, s17, s18
	s_mov_b32 s44, 0xeb564b22
	s_mul_hi_u32 s17, s6, s17
	v_sub_nc_u16 v16, v16, v27
	s_mul_i32 s18, s17, s16
	s_add_i32 s19, s17, 1
	s_sub_i32 s18, s6, s18
	v_and_b32_e32 v82, 0xffff, v18
	s_sub_i32 s20, s18, s16
	s_cmp_ge_u32 s18, s16
	v_and_b32_e32 v84, 0xffff, v16
	s_cselect_b32 s17, s19, s17
	s_cselect_b32 s18, s20, s18
	s_add_i32 s19, s17, 1
	s_cmp_ge_u32 s18, s16
	s_load_dwordx4 s[20:23], s[14:15], 0x0
	s_cselect_b32 s33, s19, s17
	s_not_b32 s4, s4
	s_mul_i32 s16, s33, s16
	s_mul_i32 s4, s4, s25
	s_sub_i32 s24, s6, s16
	s_mul_hi_u32 s4, s25, s4
	s_waitcnt lgkmcnt(0)
	s_load_dword s23, s[14:15], 0x10
	s_add_i32 s4, s25, s4
	s_load_dwordx4 s[16:19], s[12:13], 0x0
	s_mul_hi_u32 s25, s24, s4
	s_mul_hi_u32 s4, s6, s4
	s_mul_i32 s26, s25, s5
	s_waitcnt lgkmcnt(0)
	s_load_dword s19, s[12:13], 0x10
	s_sub_i32 s24, s24, s26
	s_add_i32 s26, s25, 1
	s_sub_i32 s27, s24, s5
	s_cmp_ge_u32 s24, s5
	s_mov_b32 s45, 0xbfefdd0d
	s_cselect_b32 s25, s26, s25
	s_cselect_b32 s24, s27, s24
	s_add_i32 s26, s25, 1
	s_cmp_ge_u32 s24, s5
	s_mul_i32 s24, s4, s5
	s_cselect_b32 s4, s26, s25
	s_sub_i32 s6, s6, s24
	v_mad_u64_u32 v[18:19], null, s20, v0, 0
	s_sub_i32 s24, s6, s5
	s_cmp_ge_u32 s6, s5
	v_mad_u64_u32 v[24:25], null, s20, v8, 0
	s_cselect_b32 s6, s24, s6
	v_mad_u64_u32 v[26:27], null, s20, v82, 0
	s_sub_i32 s24, s6, s5
	s_cmp_ge_u32 s6, s5
	s_mul_i32 s5, s4, s23
	s_cselect_b32 s64, s24, s6
	s_lshl_b64 s[10:11], s[10:11], 3
	s_mul_i32 s64, s64, 7
	v_mul_lo_u32 v28, s22, v9
	s_mul_i32 s6, s64, s22
	s_mul_i32 s23, s17, s64
	s_mul_hi_u32 s24, s16, s64
	s_add_i32 s6, s6, s5
	s_add_i32 s5, s24, s23
	s_add_u32 s14, s14, s10
	s_addc_u32 s15, s15, s11
	v_mov_b32_e32 v16, v19
	s_load_dwordx2 s[14:15], s[14:15], 0x0
	v_mad_u64_u32 v[30:31], null, s20, v83, 0
	v_mov_b32_e32 v19, v25
	v_mad_u64_u32 v[32:33], null, s20, v84, 0
	v_mad_u64_u32 v[36:37], null, s21, v0, v[16:17]
	v_mov_b32_e32 v25, v27
	v_lshlrev_b64 v[34:35], 4, v[28:29]
	v_mul_lo_u32 v28, s22, v11
	v_mad_u64_u32 v[37:38], null, s21, v8, v[19:20]
	v_mov_b32_e32 v27, v31
	v_mad_u64_u32 v[38:39], null, s21, v82, v[25:26]
	v_mov_b32_e32 v31, v33
	v_mov_b32_e32 v19, v36
	v_mad_u64_u32 v[39:40], null, s21, v83, v[27:28]
	s_waitcnt lgkmcnt(0)
	s_mul_i32 s15, s15, s33
	s_mul_hi_u32 s23, s14, s33
	s_mul_i32 s14, s14, s33
	s_add_i32 s15, s23, s15
	s_add_u32 s10, s12, s10
	s_addc_u32 s11, s13, s11
	v_mov_b32_e32 v25, v37
	s_load_dwordx2 s[10:11], s[10:11], 0x0
	v_mad_u64_u32 v[40:41], null, s21, v84, v[31:32]
	s_lshl_b64 s[12:13], s[14:15], 4
	v_lshlrev_b64 v[18:19], 4, v[18:19]
	v_mov_b32_e32 v27, v38
	v_lshlrev_b64 v[24:25], 4, v[24:25]
	v_mov_b32_e32 v31, v39
	;; [unrolled: 2-line block ×3, first 2 shown]
	v_lshlrev_b64 v[26:27], 4, v[26:27]
	v_mul_lo_u32 v28, s22, v10
	v_lshlrev_b64 v[30:31], 4, v[30:31]
	v_mad_u64_u32 v[22:23], null, s20, v88, 0
	v_lshlrev_b64 v[32:33], 4, v[32:33]
	v_mad_u64_u32 v[44:45], null, s20, v89, 0
	v_mul_u32_u24_sdwa v16, v1, v2 dst_sel:DWORD dst_unused:UNUSED_PAD src0_sel:WORD_0 src1_sel:DWORD
	v_lshlrev_b64 v[36:37], 4, v[28:29]
	s_waitcnt lgkmcnt(0)
	s_mul_i32 s11, s11, s33
	s_mul_hi_u32 s23, s10, s33
	v_mul_u32_u24_e32 v9, 0x1220, v9
	s_add_i32 s11, s23, s11
	s_add_u32 s12, s0, s12
	s_addc_u32 s13, s1, s13
	s_lshl_b64 s[0:1], s[6:7], 4
	v_lshrrev_b32_e32 v90, 19, v16
	s_add_u32 s0, s12, s0
	s_addc_u32 s1, s13, s1
	v_add_co_u32 v18, vcc_lo, s0, v18
	v_add_co_ci_u32_e32 v19, vcc_lo, s1, v19, vcc_lo
	v_add_co_u32 v38, vcc_lo, s0, v24
	v_add_co_ci_u32_e32 v39, vcc_lo, s1, v25, vcc_lo
	;; [unrolled: 2-line block ×8, first 2 shown]
	s_clause 0x3
	global_load_dwordx4 v[24:27], v[18:19], off
	global_load_dwordx4 v[30:33], v[38:39], off
	;; [unrolled: 1-line block ×4, first 2 shown]
	v_mad_u64_u32 v[18:19], null, s20, v87, 0
	v_mul_u32_u24_sdwa v28, v3, v2 dst_sel:DWORD dst_unused:UNUSED_PAD src0_sel:WORD_0 src1_sel:DWORD
	v_mov_b32_e32 v2, v23
	v_mul_lo_u16 v16, 0x121, v90
	v_lshlrev_b32_e32 v82, 4, v82
	v_mul_u32_u24_e32 v11, 0x1220, v11
	v_lshrrev_b32_e32 v91, 19, v28
	v_mov_b32_e32 v4, v19
	v_mul_lo_u32 v28, s22, v12
	v_lshlrev_b32_e32 v83, 4, v83
	v_mul_u32_u24_e32 v10, 0x1220, v10
	v_lshlrev_b32_e32 v84, 4, v84
	v_mad_u64_u32 v[4:5], null, s21, v87, v[4:5]
	v_mul_u32_u24_e32 v12, 0x1220, v12
	v_lshlrev_b32_e32 v87, 4, v87
	v_add3_u32 v9, 0, v9, v82
	v_add3_u32 v11, 0, v11, v83
	;; [unrolled: 1-line block ×3, first 2 shown]
	s_mov_b32 s26, 0x5d8e7cdc
	v_mov_b32_e32 v19, v4
	v_mov_b32_e32 v4, v45
	v_mad_u64_u32 v[45:46], null, s21, v88, v[2:3]
	v_lshlrev_b32_e32 v88, 4, v88
	v_lshlrev_b64 v[18:19], 4, v[18:19]
	v_mad_u64_u32 v[4:5], null, s21, v89, v[4:5]
	v_lshlrev_b32_e32 v89, 4, v89
	v_add3_u32 v12, 0, v12, v87
	v_mov_b32_e32 v23, v45
	v_add_co_u32 v2, vcc_lo, s0, v18
	v_add_co_ci_u32_e32 v13, vcc_lo, s1, v19, vcc_lo
	v_mov_b32_e32 v45, v4
	v_lshlrev_b64 v[4:5], 4, v[28:29]
	v_mul_lo_u32 v28, s22, v85
	v_lshlrev_b64 v[18:19], 4, v[22:23]
	s_mov_b32 s27, 0xbfd71e95
	s_mov_b32 s12, 0x75d4884
	;; [unrolled: 1-line block ×3, first 2 shown]
	v_add_co_u32 v22, vcc_lo, v2, v4
	v_add_co_ci_u32_e32 v23, vcc_lo, v13, v5, vcc_lo
	v_lshlrev_b64 v[4:5], 4, v[28:29]
	v_mul_lo_u32 v28, s22, v86
	v_add_co_u32 v2, vcc_lo, s0, v18
	v_add_co_ci_u32_e32 v13, vcc_lo, s1, v19, vcc_lo
	v_lshlrev_b64 v[18:19], 4, v[44:45]
	v_add_co_u32 v44, vcc_lo, v2, v4
	v_add_co_ci_u32_e32 v45, vcc_lo, v13, v5, vcc_lo
	v_lshlrev_b64 v[4:5], 4, v[28:29]
	v_add_co_u32 v2, vcc_lo, s0, v18
	v_add_co_ci_u32_e32 v13, vcc_lo, s1, v19, vcc_lo
	v_sub_nc_u16 v28, v1, v16
	v_add_co_u32 v46, vcc_lo, v2, v4
	v_mul_lo_u16 v2, 0x121, v91
	v_add_co_ci_u32_e32 v47, vcc_lo, v13, v5, vcc_lo
	v_mul_lo_u16 v4, 0x121, v92
	v_mul_lo_u16 v5, 0x121, v93
	;; [unrolled: 1-line block ×3, first 2 shown]
	v_sub_nc_u16 v48, v3, v2
	v_mul_lo_u16 v2, 0x121, v95
	v_mul_lo_u16 v18, 0x121, v96
	;; [unrolled: 1-line block ×3, first 2 shown]
	v_sub_nc_u16 v6, v6, v4
	v_sub_nc_u16 v5, v7, v5
	;; [unrolled: 1-line block ×4, first 2 shown]
	s_clause 0x1
	global_load_dwordx4 v[1:4], v[42:43], off
	global_load_dwordx4 v[13:16], v[22:23], off
	v_sub_nc_u16 v22, v17, v18
	v_sub_nc_u16 v21, v21, v19
	v_and_b32_e32 v100, 0xffff, v48
	v_mul_lo_u16 v7, 0x121, v97
	v_and_b32_e32 v101, 0xffff, v6
	v_and_b32_e32 v102, 0xffff, v5
	;; [unrolled: 1-line block ×5, first 2 shown]
	v_mad_u64_u32 v[21:22], null, s20, v100, 0
	v_sub_nc_u16 v7, v20, v7
	s_clause 0x1
	global_load_dwordx4 v[17:20], v[44:45], off
	global_load_dwordx4 v[42:45], v[46:47], off
	v_and_b32_e32 v103, 0xffff, v49
	v_mad_u64_u32 v[46:47], null, s20, v101, 0
	v_mad_u64_u32 v[48:49], null, s20, v102, 0
	v_mad_u64_u32 v[5:6], null, s20, v99, 0
	v_and_b32_e32 v106, 0xffff, v7
	v_mov_b32_e32 v7, v22
	v_and_b32_e32 v104, 0xffff, v50
	v_mov_b32_e32 v22, v47
	v_mov_b32_e32 v23, v49
	v_mad_u64_u32 v[50:51], null, s20, v103, 0
	v_mad_u64_u32 v[54:55], null, s21, v99, v[6:7]
	;; [unrolled: 1-line block ×6, first 2 shown]
	v_mov_b32_e32 v7, v51
	v_mov_b32_e32 v6, v54
	v_mov_b32_e32 v22, v55
	v_mad_u64_u32 v[54:55], null, s20, v106, 0
	v_mad_u64_u32 v[62:63], null, s21, v103, v[7:8]
	v_mov_b32_e32 v28, v58
	v_lshlrev_b64 v[5:6], 4, v[5:6]
	v_lshlrev_b64 v[21:22], 4, v[21:22]
	v_mov_b32_e32 v47, v56
	v_mov_b32_e32 v7, v55
	s_mov_b32 s14, 0x2b2883cd
	v_mov_b32_e32 v51, v62
	s_mov_b32 s15, 0x3fdc86fa
	v_lshlrev_b64 v[46:47], 4, v[46:47]
	s_mov_b32 s28, 0x6c9a05f6
	s_mov_b32 s38, 0x4363dd80
	;; [unrolled: 1-line block ×29, first 2 shown]
	s_mul_i32 s6, s4, s18
	s_mul_i32 s4, s16, s64
	;; [unrolled: 1-line block ×3, first 2 shown]
	s_waitcnt vmcnt(7)
	v_mad_u64_u32 v[59:60], null, s21, v102, v[23:24]
	v_mov_b32_e32 v23, v53
	v_mad_u64_u32 v[60:61], null, s20, v107, 0
	v_mad_u64_u32 v[63:64], null, s21, v104, v[23:24]
	;; [unrolled: 1-line block ×3, first 2 shown]
	v_mul_lo_u32 v28, s22, v90
	v_mov_b32_e32 v23, v61
	v_mad_u64_u32 v[65:66], null, s21, v106, v[7:8]
	v_mov_b32_e32 v53, v63
	v_add_co_u32 v7, vcc_lo, s0, v5
	v_mad_u64_u32 v[66:67], null, s21, v107, v[23:24]
	v_lshlrev_b64 v[62:63], 4, v[28:29]
	v_mul_lo_u32 v28, s22, v91
	v_add_co_ci_u32_e32 v23, vcc_lo, s1, v6, vcc_lo
	v_lshlrev_b64 v[5:6], 4, v[50:51]
	v_mov_b32_e32 v49, v59
	v_add_co_u32 v62, vcc_lo, v7, v62
	v_add_co_ci_u32_e32 v63, vcc_lo, v23, v63, vcc_lo
	v_lshlrev_b64 v[50:51], 4, v[28:29]
	v_mul_lo_u32 v28, s22, v92
	v_add_co_u32 v7, vcc_lo, s0, v21
	v_add_co_ci_u32_e32 v23, vcc_lo, s1, v22, vcc_lo
	v_lshlrev_b64 v[21:22], 4, v[52:53]
	v_add_co_u32 v50, vcc_lo, v7, v50
	v_lshlrev_b64 v[52:53], 4, v[28:29]
	v_mul_lo_u32 v28, s22, v93
	v_mov_b32_e32 v58, v64
	v_add_co_ci_u32_e32 v51, vcc_lo, v23, v51, vcc_lo
	v_add_co_u32 v7, vcc_lo, s0, v46
	v_lshlrev_b64 v[48:49], 4, v[48:49]
	v_add_co_ci_u32_e32 v23, vcc_lo, s1, v47, vcc_lo
	v_lshlrev_b64 v[46:47], 4, v[57:58]
	v_lshlrev_b64 v[56:57], 4, v[28:29]
	v_mul_lo_u32 v28, s22, v94
	v_add_co_u32 v58, vcc_lo, v7, v52
	v_add_co_ci_u32_e32 v59, vcc_lo, v23, v53, vcc_lo
	v_add_co_u32 v7, vcc_lo, s0, v48
	v_add_co_ci_u32_e32 v23, vcc_lo, s1, v49, vcc_lo
	v_lshlrev_b64 v[48:49], 4, v[28:29]
	v_mul_lo_u32 v28, s22, v95
	v_add_co_u32 v64, vcc_lo, v7, v56
	v_mov_b32_e32 v55, v65
	v_add_co_ci_u32_e32 v65, vcc_lo, v23, v57, vcc_lo
	v_add_co_u32 v7, vcc_lo, s0, v5
	v_add_co_ci_u32_e32 v23, vcc_lo, s1, v6, vcc_lo
	v_mov_b32_e32 v61, v66
	v_lshlrev_b64 v[66:67], 4, v[54:55]
	v_lshlrev_b64 v[52:53], 4, v[28:29]
	v_mul_lo_u32 v28, s22, v96
	v_add_co_u32 v54, vcc_lo, s0, v21
	v_add_co_ci_u32_e32 v55, vcc_lo, s1, v22, vcc_lo
	v_add_co_u32 v21, vcc_lo, v7, v48
	v_add_co_ci_u32_e32 v22, vcc_lo, v23, v49, vcc_lo
	;; [unrolled: 2-line block ×3, first 2 shown]
	v_lshlrev_b64 v[54:55], 4, v[28:29]
	v_add_co_u32 v7, vcc_lo, s0, v46
	v_add_co_ci_u32_e32 v23, vcc_lo, s1, v47, vcc_lo
	v_mul_lo_u32 v28, s22, v97
	v_add_co_u32 v70, vcc_lo, v7, v54
	v_lshlrev_b64 v[5:6], 4, v[60:61]
	s_clause 0x1
	global_load_dwordx4 v[46:49], v[62:63], off
	global_load_dwordx4 v[50:53], v[50:51], off
	v_add_co_ci_u32_e32 v71, vcc_lo, v23, v55, vcc_lo
	s_clause 0x2
	global_load_dwordx4 v[54:57], v[58:59], off
	global_load_dwordx4 v[58:61], v[64:65], off
	;; [unrolled: 1-line block ×3, first 2 shown]
	v_lshlrev_b64 v[72:73], 4, v[28:29]
	v_mul_lo_u32 v28, s22, v98
	v_add_co_u32 v7, vcc_lo, s0, v66
	v_add_co_ci_u32_e32 v23, vcc_lo, s1, v67, vcc_lo
	v_lshl_add_u32 v8, v8, 4, 0
	s_mov_b32 s22, 0x370991
	s_mov_b32 s23, 0x3fedd6d0
	v_lshlrev_b64 v[21:22], 4, v[28:29]
	v_add_co_u32 v28, vcc_lo, s0, v5
	v_add_co_ci_u32_e32 v66, vcc_lo, s1, v6, vcc_lo
	v_add_co_u32 v5, vcc_lo, v7, v72
	v_add_co_ci_u32_e32 v6, vcc_lo, v23, v73, vcc_lo
	;; [unrolled: 2-line block ×3, first 2 shown]
	s_clause 0x3
	global_load_dwordx4 v[66:69], v[68:69], off
	global_load_dwordx4 v[70:73], v[70:71], off
	;; [unrolled: 1-line block ×4, first 2 shown]
	v_mul_u32_u24_e32 v5, 0xf10, v0
	v_lshl_add_u32 v21, v0, 4, 0
	v_mul_u32_u24_e32 v23, 0x1220, v85
	v_mul_u32_u24_e32 v28, 0x1220, v86
	v_mul_u32_u24_e32 v85, 0x1220, v90
	v_lshrrev_b32_e32 v5, 16, v5
	v_mul_u32_u24_e32 v90, 0x1220, v92
	v_lshlrev_b32_e32 v92, 4, v99
	v_mul_u32_u24_e32 v86, 0x1220, v91
	v_mul_u32_u24_e32 v91, 0x1220, v93
	v_add_nc_u32_e32 v6, s64, v5
	v_lshlrev_b32_e32 v93, 4, v100
	v_lshlrev_b32_e32 v99, 4, v102
	s_mov_b32 s0, 0x3259b75e
	s_mov_b32 s20, 0x923c349f
	v_mul_hi_u32 v7, 0x24924925, v6
	v_add3_u32 v82, 0, v86, v93
	s_mov_b32 s1, 0x3fb79ee6
	s_mov_b32 s21, 0xbfeec746
	s_mov_b32 s58, s20
	v_sub_nc_u32_e32 v22, v6, v7
	v_lshrrev_b32_e32 v22, 1, v22
	v_add_nc_u32_e32 v7, v22, v7
	v_mul_u32_u24_e32 v22, 0x1220, v94
	v_lshlrev_b32_e32 v94, 4, v101
	v_lshrrev_b32_e32 v7, 2, v7
	v_mul_lo_u32 v7, v7, 7
	v_sub_nc_u32_e32 v6, v6, v7
	v_add3_u32 v7, 0, v23, v88
	v_add3_u32 v23, 0, v28, v89
	ds_write_b128 v21, v[24:27]
	s_waitcnt vmcnt(15)
	ds_write_b128 v8, v[30:33]
	s_waitcnt vmcnt(14)
	;; [unrolled: 2-line block ×7, first 2 shown]
	ds_write_b128 v23, v[42:45]
	v_lshlrev_b32_e32 v1, 4, v103
	v_add3_u32 v28, 0, v85, v92
	v_add3_u32 v2, 0, v90, v94
	;; [unrolled: 1-line block ×3, first 2 shown]
	v_mul_u32_u24_e32 v6, 0x122, v6
	v_add3_u32 v1, 0, v22, v1
	v_mul_u32_u24_e32 v4, 0x1220, v95
	v_lshlrev_b32_e32 v7, 4, v104
	v_mul_u32_u24_e32 v8, 0x1220, v98
	v_lshlrev_b32_e32 v6, 4, v6
	v_lshlrev_b32_e32 v9, 4, v107
	s_waitcnt vmcnt(8)
	ds_write_b128 v28, v[46:49]
	s_waitcnt vmcnt(7)
	ds_write_b128 v82, v[50:53]
	;; [unrolled: 2-line block ×5, first 2 shown]
	v_mul_lo_u16 v1, v5, 17
	v_add3_u32 v2, 0, v4, v7
	v_mul_u32_u24_e32 v3, 0x1220, v96
	v_lshlrev_b32_e32 v4, 4, v105
	v_mul_u32_u24_e32 v5, 0x1220, v97
	v_sub_nc_u16 v1, v0, v1
	v_lshlrev_b32_e32 v7, 4, v106
	v_add_nc_u32_e32 v153, 0, v6
	v_and_b32_e32 v152, 0xffff, v1
	v_add3_u32 v1, 0, v3, v4
	v_add3_u32 v3, 0, v5, v7
	;; [unrolled: 1-line block ×3, first 2 shown]
	s_waitcnt vmcnt(3)
	ds_write_b128 v2, v[66:69]
	s_waitcnt vmcnt(2)
	ds_write_b128 v1, v[70:73]
	;; [unrolled: 2-line block ×4, first 2 shown]
	v_lshlrev_b32_e32 v5, 4, v152
	s_waitcnt lgkmcnt(0)
	s_barrier
	buffer_gl0_inv
	v_add_nc_u32_e32 v151, v153, v5
	v_add3_u32 v150, 0, v5, v6
	ds_read_b128 v[1:4], v151
	ds_read_b128 v[5:8], v150 offset:272
	ds_read_b128 v[13:16], v150 offset:544
	;; [unrolled: 1-line block ×4, first 2 shown]
	s_waitcnt lgkmcnt(3)
	v_add_f64 v[17:18], v[1:2], v[5:6]
	v_add_f64 v[19:20], v[3:4], v[7:8]
	s_waitcnt lgkmcnt(2)
	v_add_f64 v[21:22], v[17:18], v[13:14]
	v_add_f64 v[23:24], v[19:20], v[15:16]
	ds_read_b128 v[17:20], v150 offset:4352
	s_waitcnt lgkmcnt(2)
	v_add_f64 v[25:26], v[21:22], v[9:10]
	v_add_f64 v[27:28], v[23:24], v[11:12]
	s_waitcnt lgkmcnt(0)
	v_add_f64 v[98:99], v[7:8], -v[19:20]
	v_add_f64 v[100:101], v[5:6], -v[17:18]
	ds_read_b128 v[136:139], v150 offset:3808
	ds_read_b128 v[21:24], v150 offset:4080
	v_add_f64 v[102:103], v[5:6], v[17:18]
	v_add_f64 v[114:115], v[7:8], v[19:20]
	ds_read_b128 v[90:93], v150 offset:1360
	ds_read_b128 v[5:8], v150 offset:2176
	;; [unrolled: 1-line block ×8, first 2 shown]
	v_add_f64 v[25:26], v[25:26], v[76:77]
	v_add_f64 v[27:28], v[27:28], v[78:79]
	s_waitcnt lgkmcnt(8)
	v_add_f64 v[64:65], v[15:16], -v[23:24]
	v_add_f64 v[62:63], v[13:14], -v[21:22]
	v_mul_f64 v[116:117], v[98:99], s[26:27]
	v_mul_f64 v[118:119], v[100:101], s[26:27]
	v_add_f64 v[42:43], v[9:10], -v[136:137]
	v_add_f64 v[46:47], v[11:12], -v[138:139]
	v_add_f64 v[52:53], v[13:14], v[21:22]
	v_add_f64 v[38:39], v[15:16], v[23:24]
	s_waitcnt lgkmcnt(1)
	v_add_f64 v[70:71], v[76:77], -v[158:159]
	v_add_f64 v[86:87], v[78:79], -v[160:161]
	v_add_f64 v[84:85], v[9:10], v[136:137]
	v_add_f64 v[66:67], v[11:12], v[138:139]
	ds_read_b128 v[13:16], v150 offset:2992
	s_waitcnt lgkmcnt(1)
	v_add_f64 v[30:31], v[94:95], v[110:111]
	v_add_f64 v[50:51], v[96:97], -v[112:113]
	v_add_f64 v[54:55], v[92:93], v[156:157]
	v_add_f64 v[82:83], v[90:91], -v[154:155]
	v_add_f64 v[80:81], v[76:77], v[158:159]
	v_add_f64 v[78:79], v[78:79], v[160:161]
	v_add_f64 v[32:33], v[5:6], -v[106:107]
	v_add_f64 v[36:37], v[25:26], v[90:91]
	v_add_f64 v[40:41], v[27:28], v[92:93]
	v_mul_f64 v[74:75], v[64:65], s[42:43]
	v_mul_f64 v[72:73], v[62:63], s[42:43]
	v_fma_f64 v[44:45], v[102:103], s[22:23], -v[116:117]
	v_fma_f64 v[48:49], v[114:115], s[22:23], v[118:119]
	v_mul_f64 v[68:69], v[42:43], s[46:47]
	v_mul_f64 v[88:89], v[46:47], s[46:47]
	v_add_f64 v[25:26], v[5:6], v[106:107]
	v_add_f64 v[27:28], v[7:8], v[108:109]
	v_add_f64 v[34:35], v[7:8], -v[108:109]
	v_mul_f64 v[126:127], v[98:99], s[44:45]
	s_waitcnt lgkmcnt(0)
	v_add_f64 v[60:61], v[58:59], -v[15:16]
	v_mul_f64 v[128:129], v[98:99], s[20:21]
	v_mul_f64 v[130:131], v[98:99], s[28:29]
	;; [unrolled: 1-line block ×9, first 2 shown]
	v_add_f64 v[104:105], v[36:37], v[56:57]
	v_add_f64 v[120:121], v[40:41], v[58:59]
	v_fma_f64 v[9:10], v[52:53], s[12:13], -v[74:75]
	v_fma_f64 v[122:123], v[38:39], s[12:13], v[72:73]
	v_add_f64 v[11:12], v[1:2], v[44:45]
	v_add_f64 v[124:125], v[3:4], v[48:49]
	;; [unrolled: 1-line block ×3, first 2 shown]
	v_add_f64 v[48:49], v[94:95], -v[110:111]
	v_add_f64 v[40:41], v[58:59], v[15:16]
	v_add_f64 v[58:59], v[90:91], v[154:155]
	v_add_f64 v[90:91], v[92:93], -v[156:157]
	v_mul_f64 v[92:93], v[86:87], s[44:45]
	v_add_f64 v[44:45], v[56:57], v[13:14]
	v_add_f64 v[56:57], v[56:57], -v[13:14]
	v_mul_f64 v[162:163], v[100:101], s[38:39]
	v_mul_f64 v[164:165], v[100:101], s[34:35]
	;; [unrolled: 1-line block ×3, first 2 shown]
	v_fma_f64 v[176:177], v[102:103], s[30:31], -v[130:131]
	v_fma_f64 v[116:117], v[102:103], s[22:23], v[116:117]
	v_fma_f64 v[172:173], v[102:103], s[0:1], -v[126:127]
	v_fma_f64 v[126:127], v[102:103], s[0:1], v[126:127]
	v_fma_f64 v[174:175], v[102:103], s[24:25], -v[128:129]
	v_add_f64 v[76:77], v[104:105], v[94:95]
	v_add_f64 v[94:95], v[120:121], v[96:97]
	v_mul_f64 v[104:105], v[70:71], s[44:45]
	v_fma_f64 v[96:97], v[84:85], s[14:15], -v[88:89]
	v_add_f64 v[9:10], v[9:10], v[11:12]
	v_fma_f64 v[11:12], v[66:67], s[14:15], v[68:69]
	v_add_f64 v[122:123], v[122:123], v[124:125]
	v_mul_f64 v[120:121], v[98:99], s[42:43]
	v_mul_f64 v[124:125], v[98:99], s[46:47]
	v_fma_f64 v[128:129], v[102:103], s[24:25], v[128:129]
	v_mul_f64 v[98:99], v[90:91], s[20:21]
	v_fma_f64 v[166:167], v[80:81], s[0:1], -v[92:93]
	v_fma_f64 v[178:179], v[102:103], s[36:37], -v[134:135]
	;; [unrolled: 1-line block ×3, first 2 shown]
	v_fma_f64 v[180:181], v[114:115], s[14:15], v[142:143]
	v_fma_f64 v[142:143], v[114:115], s[14:15], -v[142:143]
	v_fma_f64 v[182:183], v[114:115], s[0:1], v[144:145]
	v_fma_f64 v[144:145], v[114:115], s[0:1], -v[144:145]
	;; [unrolled: 2-line block ×4, first 2 shown]
	v_add_f64 v[5:6], v[76:77], v[5:6]
	v_add_f64 v[7:8], v[94:95], v[7:8]
	v_fma_f64 v[168:169], v[78:79], s[0:1], v[104:105]
	v_mul_f64 v[94:95], v[60:61], s[28:29]
	v_add_f64 v[9:10], v[96:97], v[9:10]
	v_mul_f64 v[96:97], v[56:57], s[28:29]
	v_add_f64 v[11:12], v[11:12], v[122:123]
	v_mul_f64 v[76:77], v[50:51], s[38:39]
	v_fma_f64 v[122:123], v[102:103], s[12:13], -v[120:121]
	v_fma_f64 v[120:121], v[102:103], s[12:13], v[120:121]
	v_fma_f64 v[170:171], v[102:103], s[14:15], -v[124:125]
	v_fma_f64 v[124:125], v[102:103], s[14:15], v[124:125]
	v_fma_f64 v[190:191], v[114:115], s[40:41], v[162:163]
	v_fma_f64 v[162:163], v[114:115], s[40:41], -v[162:163]
	v_fma_f64 v[192:193], v[114:115], s[36:37], v[164:165]
	v_add_f64 v[204:205], v[1:2], v[126:127]
	v_add_f64 v[180:181], v[3:4], v[180:181]
	v_add_f64 v[202:203], v[3:4], v[142:143]
	v_add_f64 v[172:173], v[1:2], v[172:173]
	v_add_f64 v[182:183], v[3:4], v[182:183]
	v_add_f64 v[206:207], v[3:4], v[144:145]
	v_add_f64 v[174:175], v[1:2], v[174:175]
	v_add_f64 v[5:6], v[5:6], v[106:107]
	v_add_f64 v[7:8], v[7:8], v[108:109]
	v_fma_f64 v[106:107], v[102:103], s[30:31], v[130:131]
	v_fma_f64 v[108:109], v[102:103], s[40:41], -v[132:133]
	v_fma_f64 v[130:131], v[102:103], s[40:41], v[132:133]
	v_fma_f64 v[132:133], v[58:59], s[24:25], -v[98:99]
	v_add_f64 v[9:10], v[166:167], v[9:10]
	v_fma_f64 v[166:167], v[54:55], s[24:25], v[100:101]
	v_add_f64 v[11:12], v[168:169], v[11:12]
	v_fma_f64 v[168:169], v[102:103], s[36:37], v[134:135]
	v_fma_f64 v[134:135], v[114:115], s[12:13], v[140:141]
	v_fma_f64 v[140:141], v[114:115], s[12:13], -v[140:141]
	v_fma_f64 v[114:115], v[114:115], s[36:37], -v[164:165]
	v_mul_f64 v[102:103], v[48:49], s[38:39]
	v_fma_f64 v[164:165], v[44:45], s[30:31], -v[94:95]
	v_add_f64 v[200:201], v[1:2], v[124:125]
	v_add_f64 v[194:195], v[1:2], v[122:123]
	;; [unrolled: 1-line block ×12, first 2 shown]
	v_mul_f64 v[108:109], v[32:33], s[34:35]
	v_add_f64 v[9:10], v[132:133], v[9:10]
	v_mul_f64 v[130:131], v[64:65], s[44:45]
	v_add_f64 v[11:12], v[166:167], v[11:12]
	v_fma_f64 v[166:167], v[40:41], s[30:31], v[96:97]
	v_add_f64 v[196:197], v[3:4], v[134:135]
	v_add_f64 v[134:135], v[1:2], v[106:107]
	v_mul_f64 v[106:107], v[34:35], s[34:35]
	v_add_f64 v[110:111], v[3:4], v[118:119]
	v_add_f64 v[140:141], v[3:4], v[140:141]
	;; [unrolled: 1-line block ×11, first 2 shown]
	v_fma_f64 v[13:14], v[30:31], s[40:41], -v[76:77]
	v_fma_f64 v[15:16], v[36:37], s[40:41], v[102:103]
	v_add_f64 v[118:119], v[1:2], v[168:169]
	v_add_f64 v[114:115], v[3:4], v[114:115]
	;; [unrolled: 1-line block ×3, first 2 shown]
	v_mul_f64 v[146:147], v[46:47], s[28:29]
	v_mul_f64 v[164:165], v[64:65], s[28:29]
	v_add_f64 v[11:12], v[166:167], v[11:12]
	v_mul_f64 v[168:169], v[46:47], s[62:63]
	v_mul_f64 v[178:179], v[48:49], s[44:45]
	v_fma_f64 v[1:2], v[25:26], s[36:37], -v[106:107]
	v_fma_f64 v[106:107], v[25:26], s[36:37], v[106:107]
	s_barrier
	buffer_gl0_inv
	v_add_f64 v[5:6], v[5:6], v[154:155]
	v_mul_f64 v[154:155], v[42:43], s[28:29]
	v_add_f64 v[7:8], v[7:8], v[156:157]
	v_mul_f64 v[156:157], v[86:87], s[34:35]
	v_add_f64 v[3:4], v[13:14], v[9:10]
	v_fma_f64 v[13:14], v[52:53], s[0:1], -v[130:131]
	v_fma_f64 v[130:131], v[52:53], s[0:1], v[130:131]
	v_add_f64 v[9:10], v[15:16], v[11:12]
	v_fma_f64 v[11:12], v[27:28], s[36:37], v[108:109]
	v_mul_f64 v[15:16], v[62:63], s[44:45]
	v_fma_f64 v[108:109], v[27:28], s[36:37], -v[108:109]
	v_add_f64 v[5:6], v[5:6], v[158:159]
	v_add_f64 v[7:8], v[7:8], v[160:161]
	v_mul_f64 v[160:161], v[90:91], s[60:61]
	v_add_f64 v[1:2], v[1:2], v[3:4]
	v_add_f64 v[130:131], v[130:131], v[198:199]
	;; [unrolled: 1-line block ×4, first 2 shown]
	v_fma_f64 v[11:12], v[38:39], s[0:1], v[15:16]
	v_fma_f64 v[13:14], v[84:85], s[30:31], -v[146:147]
	v_fma_f64 v[15:16], v[38:39], s[0:1], -v[15:16]
	v_fma_f64 v[146:147], v[84:85], s[30:31], v[146:147]
	v_add_f64 v[5:6], v[5:6], v[136:137]
	v_add_f64 v[7:8], v[7:8], v[138:139]
	v_mul_f64 v[138:139], v[50:51], s[48:49]
	v_add_f64 v[11:12], v[11:12], v[196:197]
	v_add_f64 v[9:10], v[13:14], v[9:10]
	v_fma_f64 v[13:14], v[66:67], s[30:31], v[154:155]
	v_add_f64 v[15:16], v[15:16], v[140:141]
	v_fma_f64 v[140:141], v[66:67], s[30:31], -v[154:155]
	v_mul_f64 v[154:155], v[56:57], s[58:59]
	v_add_f64 v[130:131], v[146:147], v[130:131]
	v_mul_f64 v[146:147], v[48:49], s[48:49]
	v_add_f64 v[21:22], v[5:6], v[21:22]
	v_add_f64 v[23:24], v[7:8], v[23:24]
	;; [unrolled: 1-line block ×3, first 2 shown]
	v_fma_f64 v[13:14], v[80:81], s[36:37], -v[156:157]
	v_add_f64 v[15:16], v[140:141], v[15:16]
	v_fma_f64 v[140:141], v[40:41], s[24:25], v[154:155]
	v_fma_f64 v[156:157], v[80:81], s[36:37], v[156:157]
	;; [unrolled: 1-line block ×3, first 2 shown]
	v_fma_f64 v[154:155], v[40:41], s[24:25], -v[154:155]
	v_add_f64 v[9:10], v[13:14], v[9:10]
	v_mul_f64 v[13:14], v[70:71], s[34:35]
	v_add_f64 v[130:131], v[156:157], v[130:131]
	v_fma_f64 v[156:157], v[58:59], s[40:41], v[160:161]
	v_fma_f64 v[158:159], v[78:79], s[36:37], v[13:14]
	v_fma_f64 v[13:14], v[78:79], s[36:37], -v[13:14]
	v_add_f64 v[130:131], v[156:157], v[130:131]
	v_add_f64 v[11:12], v[158:159], v[11:12]
	v_fma_f64 v[158:159], v[58:59], s[40:41], -v[160:161]
	v_add_f64 v[13:14], v[13:14], v[15:16]
	v_add_f64 v[9:10], v[158:159], v[9:10]
	v_mul_f64 v[158:159], v[82:83], s[60:61]
	v_fma_f64 v[162:163], v[54:55], s[40:41], v[158:159]
	v_fma_f64 v[15:16], v[54:55], s[40:41], -v[158:159]
	v_fma_f64 v[158:159], v[52:53], s[30:31], -v[164:165]
	v_add_f64 v[11:12], v[162:163], v[11:12]
	v_mul_f64 v[162:163], v[60:61], s[58:59]
	v_add_f64 v[160:161], v[15:16], v[13:14]
	v_add_f64 v[158:159], v[158:159], v[170:171]
	v_mul_f64 v[170:171], v[42:43], s[62:63]
	v_add_f64 v[15:16], v[23:24], v[19:20]
	v_mul_f64 v[19:20], v[86:87], s[58:59]
	v_add_f64 v[7:8], v[140:141], v[11:12]
	v_fma_f64 v[136:137], v[44:45], s[24:25], -v[162:163]
	v_mul_f64 v[11:12], v[62:63], s[28:29]
	v_mul_f64 v[140:141], v[34:35], s[52:53]
	v_fma_f64 v[162:163], v[44:45], s[24:25], v[162:163]
	v_add_f64 v[23:24], v[154:155], v[160:161]
	v_mul_f64 v[160:161], v[82:83], s[50:51]
	v_add_f64 v[7:8], v[5:6], v[7:8]
	v_add_f64 v[9:10], v[136:137], v[9:10]
	v_fma_f64 v[136:137], v[30:31], s[14:15], -v[138:139]
	v_fma_f64 v[5:6], v[38:39], s[30:31], v[11:12]
	v_fma_f64 v[156:157], v[25:26], s[22:23], -v[140:141]
	v_fma_f64 v[11:12], v[38:39], s[30:31], -v[11:12]
	v_fma_f64 v[140:141], v[25:26], s[22:23], v[140:141]
	v_add_f64 v[9:10], v[136:137], v[9:10]
	v_mul_f64 v[136:137], v[32:33], s[52:53]
	v_add_f64 v[166:167], v[5:6], v[180:181]
	v_add_f64 v[176:177], v[11:12], v[202:203]
	v_mul_f64 v[180:181], v[50:51], s[56:57]
	v_add_f64 v[5:6], v[156:157], v[9:10]
	v_fma_f64 v[13:14], v[27:28], s[22:23], v[136:137]
	v_fma_f64 v[9:10], v[84:85], s[36:37], -v[168:169]
	v_mul_f64 v[156:157], v[70:71], s[58:59]
	v_fma_f64 v[136:137], v[27:28], s[22:23], -v[136:137]
	v_fma_f64 v[168:169], v[84:85], s[36:37], v[168:169]
	v_add_f64 v[7:8], v[13:14], v[7:8]
	v_add_f64 v[13:14], v[21:22], v[17:18]
	v_fma_f64 v[17:18], v[66:67], s[36:37], v[170:171]
	v_add_f64 v[21:22], v[162:163], v[130:131]
	v_fma_f64 v[130:131], v[30:31], s[14:15], v[138:139]
	v_fma_f64 v[138:139], v[36:37], s[14:15], -v[146:147]
	v_add_f64 v[9:10], v[9:10], v[158:159]
	v_fma_f64 v[146:147], v[80:81], s[24:25], -v[19:20]
	v_fma_f64 v[154:155], v[78:79], s[24:25], v[156:157]
	v_mul_f64 v[158:159], v[90:91], s[50:51]
	v_fma_f64 v[162:163], v[52:53], s[30:31], v[164:165]
	v_fma_f64 v[170:171], v[66:67], s[36:37], -v[170:171]
	v_fma_f64 v[19:20], v[80:81], s[24:25], v[19:20]
	v_fma_f64 v[156:157], v[78:79], s[24:25], -v[156:157]
	v_add_f64 v[17:18], v[17:18], v[166:167]
	v_mul_f64 v[166:167], v[50:51], s[44:45]
	v_add_f64 v[21:22], v[130:131], v[21:22]
	v_add_f64 v[23:24], v[138:139], v[23:24]
	v_fma_f64 v[138:139], v[54:55], s[12:13], v[160:161]
	v_add_f64 v[9:10], v[146:147], v[9:10]
	v_mul_f64 v[146:147], v[60:61], s[26:27]
	v_fma_f64 v[130:131], v[58:59], s[12:13], -v[158:159]
	v_add_f64 v[162:163], v[162:163], v[200:201]
	v_add_f64 v[17:18], v[154:155], v[17:18]
	v_mul_f64 v[154:155], v[56:57], s[26:27]
	v_add_f64 v[11:12], v[136:137], v[23:24]
	v_fma_f64 v[136:137], v[30:31], s[0:1], -v[166:167]
	v_mul_f64 v[23:24], v[34:35], s[38:39]
	v_add_f64 v[130:131], v[130:131], v[9:10]
	v_add_f64 v[9:10], v[140:141], v[21:22]
	v_fma_f64 v[140:141], v[36:37], s[0:1], v[178:179]
	v_mul_f64 v[21:22], v[32:33], s[38:39]
	v_fma_f64 v[178:179], v[36:37], s[0:1], -v[178:179]
	v_add_f64 v[17:18], v[138:139], v[17:18]
	v_fma_f64 v[138:139], v[44:45], s[22:23], -v[146:147]
	v_fma_f64 v[164:165], v[40:41], s[22:23], v[154:155]
	v_add_f64 v[130:131], v[138:139], v[130:131]
	v_add_f64 v[17:18], v[164:165], v[17:18]
	;; [unrolled: 1-line block ×4, first 2 shown]
	v_mul_f64 v[164:165], v[64:65], s[34:35]
	v_mul_f64 v[168:169], v[62:63], s[34:35]
	;; [unrolled: 1-line block ×4, first 2 shown]
	v_add_f64 v[130:131], v[136:137], v[130:131]
	v_fma_f64 v[136:137], v[25:26], s[40:41], -v[23:24]
	v_add_f64 v[19:20], v[19:20], v[138:139]
	v_fma_f64 v[138:139], v[58:59], s[12:13], v[158:159]
	v_add_f64 v[140:141], v[140:141], v[17:18]
	v_fma_f64 v[158:159], v[27:28], s[40:41], v[21:22]
	v_add_f64 v[156:157], v[156:157], v[162:163]
	v_fma_f64 v[162:163], v[52:53], s[36:37], -v[164:165]
	v_fma_f64 v[164:165], v[52:53], s[36:37], v[164:165]
	v_fma_f64 v[23:24], v[25:26], s[40:41], v[23:24]
	v_add_f64 v[17:18], v[136:137], v[130:131]
	v_fma_f64 v[136:137], v[54:55], s[12:13], -v[160:161]
	v_add_f64 v[130:131], v[138:139], v[19:20]
	v_fma_f64 v[138:139], v[44:45], s[22:23], v[146:147]
	v_add_f64 v[19:20], v[158:159], v[140:141]
	v_fma_f64 v[146:147], v[38:39], s[36:37], v[168:169]
	v_add_f64 v[140:141], v[162:163], v[172:173]
	v_fma_f64 v[158:159], v[84:85], s[24:25], -v[170:171]
	v_mul_f64 v[160:161], v[42:43], s[58:59]
	v_mul_f64 v[162:163], v[86:87], s[52:53]
	;; [unrolled: 1-line block ×3, first 2 shown]
	v_fma_f64 v[168:169], v[38:39], s[36:37], -v[168:169]
	v_add_f64 v[164:165], v[164:165], v[204:205]
	v_fma_f64 v[170:171], v[84:85], s[24:25], v[170:171]
	v_add_f64 v[136:137], v[136:137], v[156:157]
	v_add_f64 v[130:131], v[138:139], v[130:131]
	v_fma_f64 v[138:139], v[40:41], s[22:23], -v[154:155]
	v_fma_f64 v[154:155], v[30:31], s[0:1], v[166:167]
	v_add_f64 v[146:147], v[146:147], v[182:183]
	v_add_f64 v[140:141], v[158:159], v[140:141]
	v_fma_f64 v[156:157], v[66:67], s[24:25], v[160:161]
	v_fma_f64 v[158:159], v[80:81], s[22:23], -v[162:163]
	v_mul_f64 v[166:167], v[70:71], s[52:53]
	v_add_f64 v[168:169], v[168:169], v[206:207]
	v_fma_f64 v[160:161], v[66:67], s[24:25], -v[160:161]
	v_mul_f64 v[182:183], v[48:49], s[56:57]
	v_add_f64 v[164:165], v[170:171], v[164:165]
	v_fma_f64 v[170:171], v[30:31], s[30:31], -v[180:181]
	v_fma_f64 v[162:163], v[80:81], s[22:23], v[162:163]
	v_add_f64 v[138:139], v[138:139], v[136:137]
	v_add_f64 v[136:137], v[154:155], v[130:131]
	v_fma_f64 v[154:155], v[58:59], s[14:15], -v[172:173]
	v_add_f64 v[130:131], v[156:157], v[146:147]
	v_add_f64 v[140:141], v[158:159], v[140:141]
	v_fma_f64 v[146:147], v[78:79], s[22:23], v[166:167]
	v_mul_f64 v[156:157], v[82:83], s[46:47]
	v_mul_f64 v[158:159], v[60:61], s[38:39]
	v_add_f64 v[160:161], v[160:161], v[168:169]
	v_fma_f64 v[166:167], v[78:79], s[22:23], -v[166:167]
	v_mul_f64 v[168:169], v[64:65], s[60:61]
	v_add_f64 v[140:141], v[154:155], v[140:141]
	v_add_f64 v[130:131], v[146:147], v[130:131]
	v_fma_f64 v[146:147], v[54:55], s[14:15], v[156:157]
	v_fma_f64 v[154:155], v[44:45], s[40:41], -v[158:159]
	v_fma_f64 v[156:157], v[54:55], s[14:15], -v[156:157]
	v_add_f64 v[160:161], v[166:167], v[160:161]
	v_mul_f64 v[166:167], v[46:47], s[50:51]
	v_fma_f64 v[158:159], v[44:45], s[40:41], v[158:159]
	v_add_f64 v[146:147], v[146:147], v[130:131]
	v_add_f64 v[140:141], v[154:155], v[140:141]
	v_fma_f64 v[154:155], v[40:41], s[40:41], v[176:177]
	v_add_f64 v[130:131], v[178:179], v[138:139]
	v_mul_f64 v[178:179], v[62:63], s[60:61]
	v_add_f64 v[156:157], v[156:157], v[160:161]
	v_fma_f64 v[176:177], v[40:41], s[40:41], -v[176:177]
	v_add_f64 v[138:139], v[154:155], v[146:147]
	v_fma_f64 v[154:155], v[36:37], s[30:31], v[182:183]
	v_add_f64 v[146:147], v[170:171], v[140:141]
	v_add_f64 v[140:141], v[162:163], v[164:165]
	v_fma_f64 v[162:163], v[58:59], s[14:15], v[172:173]
	v_fma_f64 v[164:165], v[38:39], s[40:41], v[178:179]
	v_mul_f64 v[170:171], v[42:43], s[50:51]
	v_mul_f64 v[172:173], v[86:87], s[46:47]
	v_add_f64 v[156:157], v[176:177], v[156:157]
	v_mul_f64 v[176:177], v[82:83], s[34:35]
	v_fma_f64 v[178:179], v[38:39], s[40:41], -v[178:179]
	v_fma_f64 v[182:183], v[36:37], s[30:31], -v[182:183]
	v_add_f64 v[138:139], v[154:155], v[138:139]
	v_fma_f64 v[154:155], v[52:53], s[40:41], -v[168:169]
	v_add_f64 v[140:141], v[162:163], v[140:141]
	v_add_f64 v[160:161], v[164:165], v[184:185]
	v_fma_f64 v[162:163], v[84:85], s[12:13], -v[166:167]
	v_fma_f64 v[164:165], v[66:67], s[12:13], v[170:171]
	v_fma_f64 v[166:167], v[84:85], s[12:13], v[166:167]
	v_mul_f64 v[184:185], v[50:51], s[26:27]
	v_add_f64 v[148:149], v[178:179], v[148:149]
	v_fma_f64 v[170:171], v[66:67], s[12:13], -v[170:171]
	v_mul_f64 v[178:179], v[48:49], s[26:27]
	v_add_f64 v[154:155], v[154:155], v[174:175]
	v_mul_f64 v[174:175], v[70:71], s[46:47]
	v_add_f64 v[140:141], v[158:159], v[140:141]
	v_fma_f64 v[158:159], v[30:31], s[30:31], v[180:181]
	v_mul_f64 v[180:181], v[90:91], s[34:35]
	v_add_f64 v[160:161], v[164:165], v[160:161]
	v_add_f64 v[170:171], v[170:171], v[148:149]
	;; [unrolled: 1-line block ×3, first 2 shown]
	v_mul_f64 v[156:157], v[62:63], s[58:59]
	v_mul_f64 v[182:183], v[42:43], s[26:27]
	v_fma_f64 v[186:187], v[36:37], s[22:23], v[178:179]
	v_fma_f64 v[178:179], v[36:37], s[22:23], -v[178:179]
	v_add_f64 v[154:155], v[162:163], v[154:155]
	v_fma_f64 v[162:163], v[80:81], s[14:15], -v[172:173]
	v_fma_f64 v[164:165], v[78:79], s[14:15], v[174:175]
	v_add_f64 v[140:141], v[158:159], v[140:141]
	v_fma_f64 v[174:175], v[78:79], s[14:15], -v[174:175]
	v_add_f64 v[154:155], v[162:163], v[154:155]
	v_add_f64 v[158:159], v[164:165], v[160:161]
	v_fma_f64 v[160:161], v[58:59], s[36:37], -v[180:181]
	v_fma_f64 v[162:163], v[54:55], s[36:37], v[176:177]
	v_mul_f64 v[164:165], v[60:61], s[54:55]
	v_add_f64 v[170:171], v[174:175], v[170:171]
	v_fma_f64 v[174:175], v[54:55], s[36:37], -v[176:177]
	v_fma_f64 v[176:177], v[38:39], s[24:25], v[156:157]
	v_fma_f64 v[156:157], v[38:39], s[24:25], -v[156:157]
	v_add_f64 v[154:155], v[160:161], v[154:155]
	v_fma_f64 v[160:161], v[52:53], s[40:41], v[168:169]
	v_add_f64 v[158:159], v[162:163], v[158:159]
	v_fma_f64 v[162:163], v[44:45], s[0:1], -v[164:165]
	v_mul_f64 v[168:169], v[56:57], s[54:55]
	v_fma_f64 v[164:165], v[44:45], s[0:1], v[164:165]
	v_add_f64 v[170:171], v[174:175], v[170:171]
	v_add_f64 v[142:143], v[176:177], v[142:143]
	v_fma_f64 v[174:175], v[66:67], s[22:23], v[182:183]
	v_mul_f64 v[176:177], v[70:71], s[38:39]
	v_add_f64 v[132:133], v[156:157], v[132:133]
	v_fma_f64 v[182:183], v[66:67], s[22:23], -v[182:183]
	v_add_f64 v[160:161], v[160:161], v[208:209]
	v_add_f64 v[154:155], v[162:163], v[154:155]
	v_fma_f64 v[162:163], v[40:41], s[0:1], v[168:169]
	v_add_f64 v[142:143], v[174:175], v[142:143]
	v_fma_f64 v[174:175], v[78:79], s[40:41], v[176:177]
	v_add_f64 v[132:133], v[182:183], v[132:133]
	v_mul_f64 v[182:183], v[46:47], s[44:45]
	v_add_f64 v[160:161], v[166:167], v[160:161]
	v_fma_f64 v[166:167], v[80:81], s[14:15], v[172:173]
	v_mul_f64 v[172:173], v[64:65], s[58:59]
	v_add_f64 v[158:159], v[162:163], v[158:159]
	v_fma_f64 v[162:163], v[30:31], s[22:23], -v[184:185]
	v_fma_f64 v[184:185], v[30:31], s[22:23], v[184:185]
	v_add_f64 v[142:143], v[174:175], v[142:143]
	v_mul_f64 v[174:175], v[60:61], s[42:43]
	v_add_f64 v[160:161], v[166:167], v[160:161]
	v_fma_f64 v[166:167], v[58:59], s[36:37], v[180:181]
	v_mul_f64 v[180:181], v[46:47], s[26:27]
	v_add_f64 v[154:155], v[162:163], v[154:155]
	v_fma_f64 v[162:163], v[52:53], s[24:25], -v[172:173]
	v_fma_f64 v[172:173], v[52:53], s[24:25], v[172:173]
	v_mul_f64 v[46:47], v[46:47], s[38:39]
	v_add_f64 v[158:159], v[186:187], v[158:159]
	v_fma_f64 v[156:157], v[44:45], s[12:13], -v[174:175]
	v_add_f64 v[160:161], v[166:167], v[160:161]
	v_mul_f64 v[166:167], v[86:87], s[38:39]
	v_add_f64 v[144:145], v[162:163], v[144:145]
	v_fma_f64 v[162:163], v[84:85], s[22:23], -v[180:181]
	v_add_f64 v[134:135], v[172:173], v[134:135]
	v_mul_f64 v[172:173], v[56:57], s[42:43]
	v_fma_f64 v[180:181], v[84:85], s[22:23], v[180:181]
	v_add_f64 v[160:161], v[164:165], v[160:161]
	v_fma_f64 v[164:165], v[40:41], s[0:1], -v[168:169]
	v_mul_f64 v[168:169], v[90:91], s[54:55]
	v_add_f64 v[144:145], v[162:163], v[144:145]
	v_fma_f64 v[162:163], v[80:81], s[40:41], -v[166:167]
	v_add_f64 v[134:135], v[180:181], v[134:135]
	v_add_f64 v[160:161], v[184:185], v[160:161]
	v_add_f64 v[164:165], v[164:165], v[170:171]
	v_mul_f64 v[170:171], v[82:83], s[54:55]
	v_mul_f64 v[184:185], v[62:63], s[48:49]
	;; [unrolled: 1-line block ×3, first 2 shown]
	v_add_f64 v[144:145], v[162:163], v[144:145]
	v_fma_f64 v[162:163], v[58:59], s[0:1], -v[168:169]
	v_fma_f64 v[168:169], v[58:59], s[0:1], v[168:169]
	v_add_f64 v[164:165], v[178:179], v[164:165]
	v_mul_f64 v[178:179], v[64:65], s[48:49]
	v_fma_f64 v[180:181], v[38:39], s[14:15], v[184:185]
	v_mul_f64 v[64:65], v[64:65], s[52:53]
	v_add_f64 v[144:145], v[162:163], v[144:145]
	v_fma_f64 v[162:163], v[54:55], s[0:1], v[170:171]
	v_fma_f64 v[170:171], v[54:55], s[0:1], -v[170:171]
	v_add_f64 v[128:129], v[180:181], v[128:129]
	v_mul_f64 v[180:181], v[70:71], s[56:57]
	v_mul_f64 v[70:71], v[70:71], s[50:51]
	v_add_f64 v[144:145], v[156:157], v[144:145]
	v_add_f64 v[142:143], v[162:163], v[142:143]
	v_fma_f64 v[162:163], v[40:41], s[12:13], v[172:173]
	v_fma_f64 v[156:157], v[80:81], s[40:41], v[166:167]
	v_fma_f64 v[166:167], v[78:79], s[40:41], -v[176:177]
	v_fma_f64 v[176:177], v[52:53], s[14:15], -v[178:179]
	v_fma_f64 v[178:179], v[52:53], s[14:15], v[178:179]
	v_fma_f64 v[172:173], v[40:41], s[12:13], -v[172:173]
	v_add_f64 v[142:143], v[162:163], v[142:143]
	v_mul_f64 v[162:163], v[42:43], s[44:45]
	v_add_f64 v[134:135], v[156:157], v[134:135]
	v_add_f64 v[132:133], v[166:167], v[132:133]
	;; [unrolled: 1-line block ×3, first 2 shown]
	v_fma_f64 v[156:157], v[84:85], s[0:1], -v[182:183]
	v_mul_f64 v[166:167], v[86:87], s[56:57]
	v_add_f64 v[124:125], v[178:179], v[124:125]
	v_fma_f64 v[178:179], v[52:53], s[22:23], -v[64:65]
	v_fma_f64 v[64:65], v[52:53], s[22:23], v[64:65]
	v_fma_f64 v[52:53], v[52:53], s[12:13], v[74:75]
	v_mul_f64 v[42:43], v[42:43], s[38:39]
	v_mul_f64 v[86:87], v[86:87], s[50:51]
	;; [unrolled: 1-line block ×3, first 2 shown]
	v_fma_f64 v[176:177], v[66:67], s[0:1], v[162:163]
	v_add_f64 v[134:135], v[168:169], v[134:135]
	v_fma_f64 v[168:169], v[84:85], s[0:1], v[182:183]
	v_fma_f64 v[162:163], v[66:67], s[0:1], -v[162:163]
	v_add_f64 v[126:127], v[156:157], v[126:127]
	v_fma_f64 v[156:157], v[80:81], s[30:31], -v[166:167]
	v_fma_f64 v[166:167], v[80:81], s[30:31], v[166:167]
	v_add_f64 v[120:121], v[178:179], v[120:121]
	v_add_f64 v[64:65], v[64:65], v[118:119]
	;; [unrolled: 1-line block ×3, first 2 shown]
	v_fma_f64 v[112:113], v[66:67], s[40:41], v[42:43]
	v_fma_f64 v[42:43], v[66:67], s[40:41], -v[42:43]
	v_fma_f64 v[66:67], v[66:67], s[14:15], -v[68:69]
	v_mul_f64 v[182:183], v[82:83], s[26:27]
	v_mul_f64 v[82:83], v[82:83], s[28:29]
	v_fma_f64 v[118:119], v[30:31], s[36:37], -v[74:75]
	v_add_f64 v[132:133], v[170:171], v[132:133]
	v_fma_f64 v[170:171], v[44:45], s[12:13], v[174:175]
	v_fma_f64 v[74:75], v[30:31], s[36:37], v[74:75]
	v_add_f64 v[128:129], v[176:177], v[128:129]
	v_fma_f64 v[176:177], v[78:79], s[30:31], v[180:181]
	v_add_f64 v[124:125], v[168:169], v[124:125]
	v_add_f64 v[126:127], v[156:157], v[126:127]
	v_fma_f64 v[156:157], v[38:39], s[14:15], -v[184:185]
	v_fma_f64 v[184:185], v[38:39], s[22:23], v[62:63]
	v_fma_f64 v[62:63], v[38:39], s[22:23], -v[62:63]
	v_fma_f64 v[38:39], v[38:39], s[12:13], -v[72:73]
	v_mul_f64 v[72:73], v[56:57], s[34:35]
	v_mul_f64 v[56:57], v[56:57], s[48:49]
	v_fma_f64 v[178:179], v[54:55], s[22:23], v[182:183]
	v_add_f64 v[128:129], v[176:177], v[128:129]
	v_mul_f64 v[176:177], v[90:91], s[26:27]
	v_add_f64 v[68:69], v[166:167], v[124:125]
	v_add_f64 v[122:123], v[156:157], v[122:123]
	;; [unrolled: 1-line block ×4, first 2 shown]
	v_fma_f64 v[114:115], v[84:85], s[40:41], -v[46:47]
	v_fma_f64 v[46:47], v[84:85], s[40:41], v[46:47]
	v_fma_f64 v[84:85], v[84:85], s[14:15], v[88:89]
	v_add_f64 v[38:39], v[38:39], v[110:111]
	v_fma_f64 v[110:111], v[78:79], s[30:31], -v[180:181]
	v_mul_f64 v[184:185], v[60:61], s[34:35]
	v_mul_f64 v[60:61], v[60:61], s[48:49]
	;; [unrolled: 1-line block ×3, first 2 shown]
	v_fma_f64 v[174:175], v[40:41], s[36:37], v[72:73]
	v_fma_f64 v[72:73], v[40:41], s[36:37], -v[72:73]
	v_add_f64 v[128:129], v[178:179], v[128:129]
	v_fma_f64 v[124:125], v[58:59], s[22:23], v[176:177]
	v_fma_f64 v[168:169], v[58:59], s[22:23], -v[176:177]
	v_add_f64 v[122:123], v[162:163], v[122:123]
	v_mul_f64 v[162:163], v[34:35], s[50:51]
	v_add_f64 v[112:113], v[112:113], v[116:117]
	v_add_f64 v[114:115], v[114:115], v[120:121]
	v_fma_f64 v[116:117], v[80:81], s[12:13], -v[86:87]
	v_add_f64 v[46:47], v[46:47], v[64:65]
	v_add_f64 v[42:43], v[42:43], v[62:63]
	;; [unrolled: 1-line block ×3, first 2 shown]
	v_mul_f64 v[62:63], v[90:91], s[28:29]
	v_fma_f64 v[64:65], v[78:79], s[12:13], v[70:71]
	v_fma_f64 v[84:85], v[80:81], s[12:13], v[86:87]
	v_fma_f64 v[70:71], v[78:79], s[12:13], -v[70:71]
	v_fma_f64 v[80:81], v[80:81], s[0:1], v[92:93]
	v_add_f64 v[38:39], v[66:67], v[38:39]
	v_fma_f64 v[66:67], v[78:79], s[0:1], -v[104:105]
	v_mul_f64 v[120:121], v[32:33], s[50:51]
	v_fma_f64 v[88:89], v[36:37], s[36:37], v[156:157]
	v_add_f64 v[86:87], v[118:119], v[144:145]
	v_add_f64 v[68:69], v[124:125], v[68:69]
	;; [unrolled: 1-line block ×3, first 2 shown]
	v_fma_f64 v[168:169], v[44:45], s[36:37], -v[184:185]
	v_add_f64 v[92:93], v[172:173], v[132:133]
	v_add_f64 v[110:111], v[110:111], v[122:123]
	v_fma_f64 v[104:105], v[25:26], s[12:13], -v[162:163]
	v_mul_f64 v[122:123], v[34:35], s[28:29]
	v_add_f64 v[78:79], v[174:175], v[128:129]
	v_add_f64 v[114:115], v[116:117], v[114:115]
	v_fma_f64 v[116:117], v[54:55], s[22:23], -v[182:183]
	v_add_f64 v[90:91], v[170:171], v[134:135]
	v_fma_f64 v[124:125], v[58:59], s[30:31], -v[62:63]
	v_add_f64 v[64:65], v[64:65], v[112:113]
	v_add_f64 v[46:47], v[84:85], v[46:47]
	v_fma_f64 v[84:85], v[54:55], s[30:31], v[82:83]
	v_add_f64 v[42:43], v[70:71], v[42:43]
	v_add_f64 v[52:53], v[80:81], v[52:53]
	v_fma_f64 v[62:63], v[58:59], s[30:31], v[62:63]
	v_fma_f64 v[70:71], v[54:55], s[30:31], -v[82:83]
	v_fma_f64 v[58:59], v[58:59], s[24:25], v[98:99]
	v_add_f64 v[66:67], v[66:67], v[38:39]
	v_fma_f64 v[82:83], v[27:28], s[40:41], -v[21:22]
	v_add_f64 v[21:22], v[23:24], v[136:137]
	v_fma_f64 v[23:24], v[54:55], s[24:25], -v[100:101]
	v_add_f64 v[118:119], v[168:169], v[126:127]
	v_mul_f64 v[80:81], v[32:33], s[28:29]
	v_add_f64 v[38:39], v[104:105], v[146:147]
	v_fma_f64 v[54:55], v[27:28], s[12:13], v[120:121]
	v_fma_f64 v[100:101], v[27:28], s[12:13], -v[120:121]
	v_fma_f64 v[120:121], v[25:26], s[30:31], v[122:123]
	v_add_f64 v[104:105], v[116:117], v[110:111]
	v_fma_f64 v[116:117], v[44:45], s[36:37], v[184:185]
	v_fma_f64 v[110:111], v[25:26], s[30:31], -v[122:123]
	v_add_f64 v[112:113], v[124:125], v[114:115]
	v_mul_f64 v[114:115], v[50:51], s[50:51]
	v_mul_f64 v[50:51], v[50:51], s[20:21]
	v_add_f64 v[64:65], v[84:85], v[64:65]
	v_mul_f64 v[84:85], v[48:49], s[50:51]
	v_mul_f64 v[48:49], v[48:49], s[20:21]
	v_add_f64 v[46:47], v[62:63], v[46:47]
	v_fma_f64 v[62:63], v[44:45], s[14:15], -v[60:61]
	v_add_f64 v[52:53], v[58:59], v[52:53]
	v_fma_f64 v[58:59], v[40:41], s[14:15], v[56:57]
	v_fma_f64 v[60:61], v[44:45], s[14:15], v[60:61]
	v_fma_f64 v[56:57], v[40:41], s[14:15], -v[56:57]
	v_add_f64 v[23:24], v[23:24], v[66:67]
	v_fma_f64 v[44:45], v[44:45], s[30:31], v[94:95]
	v_fma_f64 v[40:41], v[40:41], s[30:31], -v[96:97]
	v_add_f64 v[42:43], v[70:71], v[42:43]
	v_mul_f64 v[66:67], v[34:35], s[48:49]
	v_fma_f64 v[122:123], v[36:37], s[36:37], -v[156:157]
	v_mul_f64 v[94:95], v[32:33], s[48:49]
	v_add_f64 v[72:73], v[72:73], v[104:105]
	v_add_f64 v[68:69], v[116:117], v[68:69]
	v_mul_f64 v[104:105], v[34:35], s[20:21]
	v_mul_f64 v[34:35], v[34:35], s[54:55]
	v_fma_f64 v[96:97], v[30:31], s[12:13], -v[114:115]
	v_fma_f64 v[114:115], v[30:31], s[12:13], v[114:115]
	v_fma_f64 v[70:71], v[27:28], s[30:31], v[80:81]
	;; [unrolled: 1-line block ×3, first 2 shown]
	v_fma_f64 v[84:85], v[36:37], s[12:13], -v[84:85]
	v_add_f64 v[88:89], v[88:89], v[142:143]
	v_add_f64 v[62:63], v[62:63], v[112:113]
	v_mul_f64 v[112:113], v[32:33], s[20:21]
	v_add_f64 v[58:59], v[58:59], v[64:65]
	v_fma_f64 v[64:65], v[30:31], s[24:25], -v[50:51]
	v_add_f64 v[46:47], v[60:61], v[46:47]
	v_fma_f64 v[60:61], v[36:37], s[24:25], v[48:49]
	v_fma_f64 v[50:51], v[30:31], s[24:25], v[50:51]
	v_fma_f64 v[48:49], v[36:37], s[24:25], -v[48:49]
	v_add_f64 v[44:45], v[44:45], v[52:53]
	v_add_f64 v[23:24], v[40:41], v[23:24]
	v_fma_f64 v[30:31], v[30:31], s[40:41], v[76:77]
	v_fma_f64 v[36:37], v[36:37], s[40:41], -v[102:103]
	v_mul_f64 v[32:33], v[32:33], s[54:55]
	v_add_f64 v[42:43], v[56:57], v[42:43]
	v_fma_f64 v[56:57], v[25:26], s[14:15], -v[66:67]
	v_add_f64 v[76:77], v[122:123], v[92:93]
	v_fma_f64 v[52:53], v[25:26], s[14:15], v[66:67]
	v_add_f64 v[66:67], v[96:97], v[118:119]
	v_fma_f64 v[92:93], v[25:26], s[24:25], -v[104:105]
	v_add_f64 v[78:79], v[116:117], v[78:79]
	v_add_f64 v[68:69], v[114:115], v[68:69]
	;; [unrolled: 1-line block ×3, first 2 shown]
	v_fma_f64 v[84:85], v[25:26], s[24:25], v[104:105]
	v_add_f64 v[74:75], v[74:75], v[90:91]
	v_fma_f64 v[90:91], v[27:28], s[14:15], v[94:95]
	v_fma_f64 v[96:97], v[27:28], s[24:25], v[112:113]
	v_add_f64 v[62:63], v[64:65], v[62:63]
	v_add_f64 v[60:61], v[60:61], v[58:59]
	v_fma_f64 v[58:59], v[25:26], s[0:1], -v[34:35]
	v_add_f64 v[102:103], v[50:51], v[46:47]
	v_fma_f64 v[104:105], v[25:26], s[0:1], v[34:35]
	v_fma_f64 v[112:113], v[27:28], s[24:25], -v[112:113]
	v_add_f64 v[116:117], v[30:31], v[44:45]
	v_add_f64 v[118:119], v[36:37], v[23:24]
	v_fma_f64 v[64:65], v[27:28], s[0:1], v[32:33]
	v_add_f64 v[48:49], v[48:49], v[42:43]
	v_fma_f64 v[114:115], v[27:28], s[0:1], -v[32:33]
	v_fma_f64 v[94:95], v[27:28], s[14:15], -v[94:95]
	;; [unrolled: 1-line block ×3, first 2 shown]
	v_fma_f64 v[98:99], v[25:26], s[12:13], v[162:163]
	v_add_f64 v[40:41], v[54:55], v[138:139]
	v_add_f64 v[30:31], v[110:111], v[154:155]
	;; [unrolled: 1-line block ×22, first 2 shown]
	v_mad_u32_u24 v70, 0x110, v152, v153
	ds_write_b128 v70, v[13:16]
	ds_write_b128 v70, v[1:4] offset:16
	ds_write_b128 v70, v[5:8] offset:32
	;; [unrolled: 1-line block ×15, first 2 shown]
	v_lshlrev_b32_e32 v1, 8, v152
	ds_write_b128 v70, v[66:69] offset:256
	s_waitcnt lgkmcnt(0)
	s_barrier
	buffer_gl0_inv
	s_clause 0xf
	global_load_dwordx4 v[5:8], v1, s[8:9]
	global_load_dwordx4 v[9:12], v1, s[8:9] offset:16
	global_load_dwordx4 v[13:16], v1, s[8:9] offset:32
	;; [unrolled: 1-line block ×15, first 2 shown]
	ds_read_b128 v[50:53], v150 offset:272
	ds_read_b128 v[1:4], v151
	ds_read_b128 v[70:73], v150 offset:544
	ds_read_b128 v[86:89], v150 offset:816
	;; [unrolled: 1-line block ×3, first 2 shown]
	s_waitcnt vmcnt(15) lgkmcnt(4)
	v_mul_f64 v[58:59], v[52:53], v[7:8]
	v_mul_f64 v[7:8], v[50:51], v[7:8]
	s_waitcnt vmcnt(14) lgkmcnt(2)
	v_mul_f64 v[64:65], v[72:73], v[11:12]
	v_mul_f64 v[11:12], v[70:71], v[11:12]
	v_fma_f64 v[50:51], v[50:51], v[5:6], -v[58:59]
	v_fma_f64 v[102:103], v[52:53], v[5:6], v[7:8]
	ds_read_b128 v[5:8], v150 offset:1088
	v_fma_f64 v[104:105], v[70:71], v[9:10], -v[64:65]
	s_waitcnt vmcnt(13) lgkmcnt(2)
	v_mul_f64 v[52:53], v[88:89], v[15:16]
	v_fma_f64 v[106:107], v[72:73], v[9:10], v[11:12]
	v_mul_f64 v[15:16], v[86:87], v[15:16]
	ds_read_b128 v[9:12], v150 offset:1360
	v_add_f64 v[58:59], v[1:2], v[50:51]
	v_add_f64 v[64:65], v[3:4], v[102:103]
	s_waitcnt vmcnt(12) lgkmcnt(1)
	v_mul_f64 v[70:71], v[7:8], v[19:20]
	v_mul_f64 v[19:20], v[5:6], v[19:20]
	v_fma_f64 v[108:109], v[86:87], v[13:14], -v[52:53]
	v_fma_f64 v[110:111], v[88:89], v[13:14], v[15:16]
	ds_read_b128 v[86:89], v150 offset:3808
	v_add_f64 v[58:59], v[58:59], v[104:105]
	v_add_f64 v[13:14], v[64:65], v[106:107]
	v_fma_f64 v[112:113], v[5:6], v[17:18], -v[70:71]
	v_fma_f64 v[52:53], v[7:8], v[17:18], v[19:20]
	ds_read_b128 v[5:8], v150 offset:1632
	s_waitcnt vmcnt(11) lgkmcnt(2)
	v_mul_f64 v[64:65], v[11:12], v[23:24]
	v_mul_f64 v[19:20], v[9:10], v[23:24]
	s_waitcnt vmcnt(3) lgkmcnt(1)
	v_mul_f64 v[118:119], v[88:89], v[62:63]
	v_add_f64 v[17:18], v[58:59], v[108:109]
	v_add_f64 v[23:24], v[13:14], v[110:111]
	s_waitcnt lgkmcnt(0)
	v_mul_f64 v[70:71], v[5:6], v[27:28]
	ds_read_b128 v[13:16], v150 offset:1904
	v_fma_f64 v[58:59], v[9:10], v[21:22], -v[64:65]
	v_mul_f64 v[9:10], v[7:8], v[27:28]
	v_fma_f64 v[27:28], v[11:12], v[21:22], v[19:20]
	v_add_f64 v[72:73], v[17:18], v[112:113]
	v_add_f64 v[11:12], v[23:24], v[52:53]
	ds_read_b128 v[21:24], v150 offset:4352
	v_fma_f64 v[17:18], v[7:8], v[25:26], v[70:71]
	v_fma_f64 v[64:65], v[5:6], v[25:26], -v[9:10]
	ds_read_b128 v[7:10], v150 offset:2176
	s_waitcnt lgkmcnt(2)
	v_mul_f64 v[19:20], v[15:16], v[32:33]
	v_mul_f64 v[32:33], v[13:14], v[32:33]
	v_add_f64 v[5:6], v[72:73], v[58:59]
	v_add_f64 v[11:12], v[11:12], v[27:28]
	s_waitcnt lgkmcnt(1)
	v_mul_f64 v[25:26], v[21:22], v[36:37]
	ds_read_b128 v[70:73], v150 offset:2448
	v_mul_f64 v[80:81], v[23:24], v[36:37]
	v_fma_f64 v[19:20], v[13:14], v[30:31], -v[19:20]
	v_fma_f64 v[13:14], v[15:16], v[30:31], v[32:33]
	ds_read_b128 v[30:33], v150 offset:4080
	s_waitcnt lgkmcnt(2)
	v_mul_f64 v[15:16], v[9:10], v[40:41]
	v_mul_f64 v[40:41], v[7:8], v[40:41]
	v_add_f64 v[74:75], v[5:6], v[64:65]
	v_add_f64 v[11:12], v[11:12], v[17:18]
	v_fma_f64 v[5:6], v[23:24], v[34:35], v[25:26]
	s_waitcnt lgkmcnt(1)
	v_mul_f64 v[25:26], v[72:73], v[44:45]
	v_mul_f64 v[44:45], v[70:71], v[44:45]
	s_waitcnt lgkmcnt(0)
	v_mul_f64 v[114:115], v[30:31], v[48:49]
	v_fma_f64 v[23:24], v[7:8], v[38:39], -v[15:16]
	v_fma_f64 v[9:10], v[9:10], v[38:39], v[40:41]
	v_fma_f64 v[7:8], v[21:22], v[34:35], -v[80:81]
	v_mul_f64 v[21:22], v[32:33], v[48:49]
	ds_read_b128 v[36:39], v150 offset:2992
	ds_read_b128 v[94:97], v150 offset:3264
	;; [unrolled: 1-line block ×3, first 2 shown]
	s_waitcnt vmcnt(0) lgkmcnt(0)
	s_barrier
	buffer_gl0_inv
	v_add_f64 v[40:41], v[74:75], v[19:20]
	v_add_f64 v[74:75], v[11:12], v[13:14]
	v_add_f64 v[34:35], v[102:103], -v[5:6]
	v_fma_f64 v[25:26], v[70:71], v[42:43], -v[25:26]
	v_fma_f64 v[11:12], v[72:73], v[42:43], v[44:45]
	v_mul_f64 v[42:43], v[86:87], v[62:63]
	v_mul_f64 v[70:71], v[92:93], v[56:57]
	;; [unrolled: 1-line block ×3, first 2 shown]
	v_fma_f64 v[15:16], v[32:33], v[46:47], v[114:115]
	v_mul_f64 v[56:57], v[38:39], v[68:69]
	v_mul_f64 v[114:115], v[96:97], v[78:79]
	;; [unrolled: 1-line block ×5, first 2 shown]
	v_add_f64 v[120:121], v[50:51], -v[7:8]
	v_add_f64 v[124:125], v[50:51], v[7:8]
	v_fma_f64 v[21:22], v[30:31], v[46:47], -v[21:22]
	v_add_f64 v[40:41], v[40:41], v[23:24]
	v_add_f64 v[48:49], v[74:75], v[9:10]
	v_mul_f64 v[74:75], v[36:37], v[68:69]
	v_mul_f64 v[122:123], v[34:35], s[26:27]
	;; [unrolled: 1-line block ×3, first 2 shown]
	v_fma_f64 v[80:81], v[88:89], v[60:61], v[42:43]
	v_fma_f64 v[70:71], v[90:91], v[54:55], -v[70:71]
	v_fma_f64 v[72:73], v[92:93], v[54:55], v[44:45]
	v_add_f64 v[32:33], v[106:107], -v[15:16]
	v_mul_f64 v[88:89], v[34:35], s[38:39]
	v_mul_f64 v[92:93], v[34:35], s[34:35]
	v_fma_f64 v[68:69], v[36:37], v[66:67], -v[56:57]
	v_mul_f64 v[36:37], v[34:35], s[42:43]
	v_fma_f64 v[62:63], v[96:97], v[76:77], v[78:79]
	v_fma_f64 v[78:79], v[98:99], v[82:83], -v[116:117]
	v_mul_f64 v[56:57], v[34:35], s[20:21]
	v_mul_f64 v[54:55], v[120:121], s[26:27]
	v_add_f64 v[30:31], v[104:105], v[21:22]
	v_add_f64 v[40:41], v[40:41], v[25:26]
	;; [unrolled: 1-line block ×3, first 2 shown]
	v_fma_f64 v[74:75], v[38:39], v[66:67], v[74:75]
	v_mul_f64 v[38:39], v[34:35], s[46:47]
	v_fma_f64 v[66:67], v[94:95], v[76:77], -v[114:115]
	v_fma_f64 v[76:77], v[100:101], v[82:83], v[84:85]
	v_fma_f64 v[82:83], v[86:87], v[60:61], -v[118:119]
	v_add_f64 v[60:61], v[102:103], v[5:6]
	v_fma_f64 v[50:51], v[124:125], s[22:23], -v[122:123]
	v_mul_f64 v[90:91], v[32:33], s[42:43]
	v_add_f64 v[48:49], v[104:105], -v[21:22]
	v_add_f64 v[44:45], v[110:111], -v[80:81]
	v_mul_f64 v[84:85], v[34:35], s[28:29]
	v_fma_f64 v[96:97], v[124:125], s[12:13], -v[36:37]
	v_fma_f64 v[98:99], v[124:125], s[12:13], v[36:37]
	v_fma_f64 v[116:117], v[124:125], s[0:1], -v[46:47]
	v_fma_f64 v[128:129], v[124:125], s[0:1], v[46:47]
	v_fma_f64 v[94:95], v[124:125], s[22:23], v[122:123]
	v_mul_f64 v[100:101], v[120:121], s[42:43]
	v_mul_f64 v[114:115], v[120:121], s[46:47]
	;; [unrolled: 1-line block ×3, first 2 shown]
	v_fma_f64 v[134:135], v[124:125], s[24:25], -v[56:57]
	v_add_f64 v[86:87], v[40:41], v[70:71]
	v_add_f64 v[42:43], v[42:43], v[72:73]
	;; [unrolled: 1-line block ×3, first 2 shown]
	v_fma_f64 v[102:103], v[124:125], s[14:15], -v[38:39]
	v_fma_f64 v[104:105], v[124:125], s[14:15], v[38:39]
	v_add_f64 v[38:39], v[52:53], -v[76:77]
	v_add_f64 v[34:35], v[108:109], v[82:83]
	v_fma_f64 v[36:37], v[60:61], s[22:23], v[54:55]
	v_add_f64 v[46:47], v[1:2], v[50:51]
	v_fma_f64 v[106:107], v[30:31], s[12:13], -v[90:91]
	v_mul_f64 v[130:131], v[48:49], s[42:43]
	v_mul_f64 v[132:133], v[44:45], s[46:47]
	v_add_f64 v[50:51], v[108:109], -v[82:83]
	v_mul_f64 v[108:109], v[120:121], s[20:21]
	v_mul_f64 v[122:123], v[120:121], s[28:29]
	v_fma_f64 v[136:137], v[124:125], s[24:25], v[56:57]
	v_mul_f64 v[56:57], v[120:121], s[38:39]
	v_fma_f64 v[140:141], v[124:125], s[30:31], -v[84:85]
	v_mul_f64 v[120:121], v[120:121], s[34:35]
	v_fma_f64 v[142:143], v[124:125], s[30:31], v[84:85]
	v_fma_f64 v[144:145], v[124:125], s[40:41], -v[88:89]
	v_fma_f64 v[84:85], v[124:125], s[36:37], -v[92:93]
	v_add_f64 v[126:127], v[86:87], v[68:69]
	v_add_f64 v[138:139], v[42:43], v[74:75]
	v_fma_f64 v[86:87], v[124:125], s[40:41], v[88:89]
	v_fma_f64 v[146:147], v[60:61], s[22:23], -v[54:55]
	v_fma_f64 v[88:89], v[124:125], s[36:37], v[92:93]
	v_add_f64 v[42:43], v[110:111], v[80:81]
	v_mul_f64 v[151:152], v[38:39], s[44:45]
	v_add_f64 v[92:93], v[3:4], v[36:37]
	v_add_f64 v[36:37], v[112:113], v[78:79]
	;; [unrolled: 1-line block ×3, first 2 shown]
	v_fma_f64 v[110:111], v[40:41], s[12:13], v[130:131]
	v_fma_f64 v[124:125], v[34:35], s[14:15], -v[132:133]
	v_mul_f64 v[148:149], v[50:51], s[46:47]
	v_add_f64 v[46:47], v[112:113], -v[78:79]
	v_add_f64 v[54:55], v[27:28], -v[62:63]
	v_fma_f64 v[112:113], v[60:61], s[12:13], v[100:101]
	v_fma_f64 v[153:154], v[60:61], s[12:13], -v[100:101]
	v_fma_f64 v[155:156], v[60:61], s[14:15], v[114:115]
	v_fma_f64 v[114:115], v[60:61], s[14:15], -v[114:115]
	;; [unrolled: 2-line block ×6, first 2 shown]
	v_fma_f64 v[173:174], v[60:61], s[36:37], v[120:121]
	v_add_f64 v[56:57], v[52:53], v[76:77]
	v_fma_f64 v[100:101], v[60:61], s[36:37], -v[120:121]
	v_fma_f64 v[179:180], v[36:37], s[0:1], -v[151:152]
	v_add_f64 v[52:53], v[58:59], v[66:67]
	v_add_f64 v[92:93], v[110:111], v[92:93]
	;; [unrolled: 1-line block ×3, first 2 shown]
	v_fma_f64 v[110:111], v[42:43], s[14:15], v[148:149]
	v_mul_f64 v[175:176], v[46:47], s[44:45]
	v_mul_f64 v[181:182], v[54:55], s[20:21]
	v_add_f64 v[58:59], v[58:59], -v[66:67]
	v_add_f64 v[60:61], v[17:18], -v[74:75]
	v_add_f64 v[169:170], v[126:127], v[66:67]
	v_add_f64 v[138:139], v[138:139], v[62:63]
	;; [unrolled: 1-line block ×8, first 2 shown]
	v_fma_f64 v[90:91], v[30:31], s[12:13], v[90:91]
	v_add_f64 v[66:67], v[27:28], v[62:63]
	v_add_f64 v[62:63], v[64:65], v[68:69]
	v_add_f64 v[68:69], v[64:65], -v[68:69]
	v_fma_f64 v[130:131], v[40:41], s[12:13], -v[130:131]
	v_add_f64 v[126:127], v[1:2], v[104:105]
	v_add_f64 v[122:123], v[1:2], v[116:117]
	;; [unrolled: 1-line block ×5, first 2 shown]
	v_fma_f64 v[96:97], v[56:57], s[0:1], v[175:176]
	v_fma_f64 v[128:129], v[52:53], s[24:25], -v[181:182]
	v_mul_f64 v[157:158], v[58:59], s[20:21]
	v_mul_f64 v[177:178], v[60:61], s[28:29]
	v_add_f64 v[169:170], v[169:170], v[78:79]
	v_add_f64 v[138:139], v[138:139], v[76:77]
	;; [unrolled: 1-line block ×3, first 2 shown]
	v_add_f64 v[64:65], v[13:14], -v[72:73]
	v_add_f64 v[27:28], v[1:2], v[136:137]
	v_mul_f64 v[134:135], v[32:33], s[44:45]
	v_mul_f64 v[136:137], v[48:49], s[44:45]
	v_add_f64 v[116:117], v[1:2], v[140:141]
	v_add_f64 v[104:105], v[1:2], v[142:143]
	;; [unrolled: 1-line block ×3, first 2 shown]
	v_fma_f64 v[132:133], v[34:35], s[14:15], v[132:133]
	v_add_f64 v[76:77], v[17:18], v[74:75]
	v_mul_f64 v[142:143], v[68:69], s[28:29]
	v_add_f64 v[78:79], v[19:20], -v[70:71]
	v_add_f64 v[130:131], v[130:131], v[146:147]
	v_fma_f64 v[146:147], v[42:43], s[14:15], -v[148:149]
	v_add_f64 v[185:186], v[3:4], v[112:113]
	v_add_f64 v[112:113], v[3:4], v[159:160]
	;; [unrolled: 1-line block ×4, first 2 shown]
	v_fma_f64 v[140:141], v[66:67], s[24:25], v[157:158]
	v_fma_f64 v[17:18], v[62:63], s[30:31], -v[177:178]
	v_add_f64 v[110:111], v[3:4], v[161:162]
	v_add_f64 v[70:71], v[19:20], v[70:71]
	;; [unrolled: 1-line block ×3, first 2 shown]
	v_mul_f64 v[19:20], v[64:65], s[38:39]
	v_add_f64 v[74:75], v[9:10], -v[11:12]
	v_fma_f64 v[144:145], v[30:31], s[0:1], -v[134:135]
	v_fma_f64 v[148:149], v[40:41], s[0:1], v[136:137]
	v_mul_f64 v[159:160], v[44:45], s[28:29]
	v_mul_f64 v[161:162], v[50:51], s[28:29]
	v_fma_f64 v[151:152], v[36:37], s[0:1], v[151:152]
	v_add_f64 v[132:133], v[132:133], v[94:95]
	v_add_f64 v[138:139], v[138:139], v[80:81]
	;; [unrolled: 1-line block ×3, first 2 shown]
	v_mul_f64 v[13:14], v[78:79], s[38:39]
	v_add_f64 v[124:125], v[3:4], v[114:115]
	v_add_f64 v[130:131], v[146:147], v[130:131]
	v_fma_f64 v[146:147], v[56:57], s[0:1], -v[175:176]
	v_add_f64 v[114:115], v[3:4], v[163:164]
	v_add_f64 v[163:164], v[169:170], v[82:83]
	v_add_f64 v[82:83], v[23:24], -v[25:26]
	v_add_f64 v[140:141], v[140:141], v[92:93]
	v_add_f64 v[17:18], v[17:18], v[128:129]
	v_fma_f64 v[128:129], v[76:77], s[30:31], v[142:143]
	v_add_f64 v[153:154], v[3:4], v[153:154]
	v_add_f64 v[189:190], v[1:2], v[102:103]
	;; [unrolled: 1-line block ×7, first 2 shown]
	v_fma_f64 v[165:166], v[70:71], s[40:41], -v[19:20]
	v_add_f64 v[72:73], v[23:24], v[25:26]
	v_mul_f64 v[23:24], v[74:75], s[34:35]
	v_add_f64 v[25:26], v[144:145], v[183:184]
	v_add_f64 v[144:145], v[148:149], v[185:186]
	v_fma_f64 v[148:149], v[34:35], s[30:31], -v[159:160]
	v_fma_f64 v[167:168], v[42:43], s[30:31], v[161:162]
	v_mul_f64 v[169:170], v[38:39], s[34:35]
	v_mul_f64 v[171:172], v[46:47], s[34:35]
	v_add_f64 v[92:93], v[1:2], v[88:89]
	v_fma_f64 v[1:2], v[30:31], s[0:1], v[134:135]
	v_add_f64 v[132:133], v[151:152], v[132:133]
	v_fma_f64 v[134:135], v[52:53], s[24:25], v[181:182]
	v_fma_f64 v[136:137], v[40:41], s[0:1], -v[136:137]
	v_add_f64 v[15:16], v[138:139], v[15:16]
	v_add_f64 v[128:129], v[128:129], v[140:141]
	v_mul_f64 v[138:139], v[32:33], s[28:29]
	v_fma_f64 v[140:141], v[80:81], s[40:41], v[13:14]
	v_add_f64 v[130:131], v[146:147], v[130:131]
	v_fma_f64 v[146:147], v[66:67], s[24:25], -v[157:158]
	v_mul_f64 v[151:152], v[48:49], s[28:29]
	v_add_f64 v[88:89], v[9:10], v[11:12]
	v_mul_f64 v[9:10], v[82:83], s[34:35]
	v_add_f64 v[155:156], v[3:4], v[155:156]
	v_add_f64 v[94:95], v[3:4], v[173:174]
	v_add_f64 v[21:22], v[163:164], v[21:22]
	v_add_f64 v[11:12], v[165:166], v[17:18]
	v_fma_f64 v[17:18], v[72:73], s[36:37], -v[23:24]
	v_add_f64 v[25:26], v[148:149], v[25:26]
	v_add_f64 v[144:145], v[167:168], v[144:145]
	v_fma_f64 v[148:149], v[36:37], s[36:37], -v[169:170]
	v_mul_f64 v[157:158], v[54:55], s[60:61]
	v_fma_f64 v[163:164], v[56:57], s[36:37], v[171:172]
	v_add_f64 v[167:168], v[1:2], v[187:188]
	v_fma_f64 v[159:160], v[34:35], s[30:31], v[159:160]
	v_add_f64 v[132:133], v[134:135], v[132:133]
	;; [unrolled: 2-line block ×3, first 2 shown]
	v_fma_f64 v[153:154], v[42:43], s[30:31], -v[161:162]
	v_fma_f64 v[161:162], v[30:31], s[30:31], -v[138:139]
	v_mul_f64 v[173:174], v[44:45], s[62:63]
	v_add_f64 v[128:129], v[140:141], v[128:129]
	v_add_f64 v[130:131], v[146:147], v[130:131]
	v_fma_f64 v[140:141], v[40:41], s[30:31], v[151:152]
	v_mul_f64 v[146:147], v[50:51], s[62:63]
	v_fma_f64 v[175:176], v[88:89], s[36:37], v[9:10]
	v_mul_f64 v[165:166], v[58:59], s[60:61]
	v_add_f64 v[100:101], v[3:4], v[100:101]
	v_fma_f64 v[142:143], v[76:77], s[30:31], -v[142:143]
	v_add_f64 v[3:4], v[15:16], v[5:6]
	v_add_f64 v[5:6], v[17:18], v[11:12]
	v_fma_f64 v[19:20], v[70:71], s[40:41], v[19:20]
	v_add_f64 v[11:12], v[148:149], v[25:26]
	v_fma_f64 v[15:16], v[52:53], s[40:41], -v[157:158]
	v_add_f64 v[17:18], v[163:164], v[144:145]
	v_fma_f64 v[148:149], v[36:37], s[36:37], v[169:170]
	v_add_f64 v[144:145], v[159:160], v[167:168]
	v_mul_f64 v[163:164], v[38:39], s[58:59]
	v_add_f64 v[132:133], v[134:135], v[132:133]
	v_mul_f64 v[167:168], v[46:47], s[58:59]
	v_add_f64 v[134:135], v[153:154], v[136:137]
	v_fma_f64 v[136:137], v[56:57], s[36:37], -v[171:172]
	v_add_f64 v[153:154], v[161:162], v[189:190]
	v_fma_f64 v[161:162], v[34:35], s[36:37], -v[173:174]
	v_add_f64 v[1:2], v[21:22], v[7:8]
	v_add_f64 v[140:141], v[140:141], v[155:156]
	v_fma_f64 v[155:156], v[42:43], s[36:37], v[146:147]
	v_add_f64 v[7:8], v[175:176], v[128:129]
	v_fma_f64 v[128:129], v[30:31], s[30:31], v[138:139]
	v_fma_f64 v[21:22], v[66:67], s[40:41], v[165:166]
	v_mul_f64 v[25:26], v[60:61], s[58:59]
	v_mul_f64 v[159:160], v[68:69], s[58:59]
	v_add_f64 v[130:131], v[142:143], v[130:131]
	v_fma_f64 v[138:139], v[40:41], s[30:31], -v[151:152]
	v_fma_f64 v[13:14], v[80:81], s[40:41], -v[13:14]
	v_add_f64 v[11:12], v[15:16], v[11:12]
	v_mul_f64 v[15:16], v[32:33], s[34:35]
	v_fma_f64 v[157:158], v[52:53], s[40:41], v[157:158]
	v_add_f64 v[144:145], v[148:149], v[144:145]
	v_mul_f64 v[142:143], v[64:65], s[48:49]
	v_add_f64 v[19:20], v[19:20], v[132:133]
	v_mul_f64 v[151:152], v[78:79], s[48:49]
	v_mul_f64 v[169:170], v[44:45], s[58:59]
	v_add_f64 v[134:135], v[136:137], v[134:135]
	v_fma_f64 v[136:137], v[66:67], s[40:41], -v[165:166]
	v_add_f64 v[153:154], v[161:162], v[153:154]
	v_fma_f64 v[161:162], v[36:37], s[24:25], -v[163:164]
	v_mul_f64 v[165:166], v[54:55], s[50:51]
	v_add_f64 v[132:133], v[155:156], v[140:141]
	v_fma_f64 v[140:141], v[56:57], s[24:25], v[167:168]
	v_mul_f64 v[155:156], v[58:59], s[50:51]
	v_add_f64 v[126:127], v[128:129], v[126:127]
	v_fma_f64 v[128:129], v[34:35], s[36:37], v[173:174]
	v_add_f64 v[17:18], v[21:22], v[17:18]
	v_fma_f64 v[21:22], v[62:63], s[24:25], -v[25:26]
	v_fma_f64 v[148:149], v[76:77], s[24:25], v[159:160]
	v_add_f64 v[124:125], v[138:139], v[124:125]
	v_fma_f64 v[138:139], v[42:43], s[36:37], -v[146:147]
	v_add_f64 v[13:14], v[13:14], v[130:131]
	v_fma_f64 v[130:131], v[30:31], s[36:37], -v[15:16]
	v_mul_f64 v[146:147], v[48:49], s[34:35]
	v_add_f64 v[144:145], v[157:158], v[144:145]
	v_fma_f64 v[25:26], v[62:63], s[24:25], v[25:26]
	v_mul_f64 v[173:174], v[68:69], s[26:27]
	v_mul_f64 v[157:158], v[74:75], s[52:53]
	;; [unrolled: 1-line block ×3, first 2 shown]
	v_add_f64 v[134:135], v[136:137], v[134:135]
	v_fma_f64 v[159:160], v[76:77], s[24:25], -v[159:160]
	v_add_f64 v[136:137], v[161:162], v[153:154]
	v_fma_f64 v[153:154], v[52:53], s[12:13], -v[165:166]
	v_mul_f64 v[161:162], v[60:61], s[26:27]
	v_add_f64 v[132:133], v[140:141], v[132:133]
	v_fma_f64 v[140:141], v[66:67], s[12:13], v[155:156]
	v_fma_f64 v[23:24], v[72:73], s[36:37], v[23:24]
	v_add_f64 v[126:127], v[128:129], v[126:127]
	v_fma_f64 v[128:129], v[36:37], s[24:25], v[163:164]
	v_add_f64 v[11:12], v[21:22], v[11:12]
	v_fma_f64 v[21:22], v[70:71], s[14:15], -v[142:143]
	v_add_f64 v[17:18], v[148:149], v[17:18]
	v_fma_f64 v[148:149], v[80:81], s[14:15], v[151:152]
	v_add_f64 v[124:125], v[138:139], v[124:125]
	v_fma_f64 v[138:139], v[56:57], s[24:25], -v[167:168]
	v_add_f64 v[122:123], v[130:131], v[122:123]
	v_fma_f64 v[130:131], v[40:41], s[36:37], v[146:147]
	v_fma_f64 v[163:164], v[34:35], s[24:25], -v[169:170]
	v_mul_f64 v[167:168], v[50:51], s[58:59]
	v_add_f64 v[25:26], v[25:26], v[144:145]
	v_mul_f64 v[181:182], v[78:79], s[44:45]
	v_mul_f64 v[171:172], v[82:83], s[52:53]
	v_fma_f64 v[177:178], v[88:89], s[36:37], -v[9:10]
	v_add_f64 v[134:135], v[159:160], v[134:135]
	v_add_f64 v[136:137], v[153:154], v[136:137]
	v_fma_f64 v[144:145], v[62:63], s[22:23], -v[161:162]
	v_mul_f64 v[153:154], v[64:65], s[44:45]
	v_add_f64 v[132:133], v[140:141], v[132:133]
	v_fma_f64 v[140:141], v[76:77], s[22:23], v[173:174]
	v_fma_f64 v[142:143], v[70:71], s[14:15], v[142:143]
	v_add_f64 v[126:127], v[128:129], v[126:127]
	v_fma_f64 v[128:129], v[52:53], s[12:13], v[165:166]
	v_add_f64 v[21:22], v[21:22], v[11:12]
	v_mul_f64 v[165:166], v[54:55], s[46:47]
	v_add_f64 v[17:18], v[148:149], v[17:18]
	v_fma_f64 v[148:149], v[72:73], s[22:23], -v[157:158]
	v_add_f64 v[124:125], v[138:139], v[124:125]
	v_fma_f64 v[138:139], v[66:67], s[12:13], -v[155:156]
	v_add_f64 v[120:121], v[130:131], v[120:121]
	v_add_f64 v[122:123], v[163:164], v[122:123]
	v_fma_f64 v[130:131], v[42:43], s[24:25], v[167:168]
	v_fma_f64 v[155:156], v[36:37], s[22:23], -v[175:176]
	v_mul_f64 v[163:164], v[46:47], s[52:53]
	v_fma_f64 v[151:152], v[80:81], s[14:15], -v[151:152]
	v_add_f64 v[9:10], v[23:24], v[19:20]
	v_fma_f64 v[15:16], v[30:31], s[36:37], v[15:16]
	v_fma_f64 v[179:180], v[88:89], s[22:23], v[171:172]
	v_add_f64 v[19:20], v[144:145], v[136:137]
	v_mul_f64 v[144:145], v[32:33], s[60:61]
	v_add_f64 v[11:12], v[177:178], v[13:14]
	v_add_f64 v[23:24], v[140:141], v[132:133]
	v_fma_f64 v[132:133], v[80:81], s[0:1], v[181:182]
	v_mul_f64 v[140:141], v[82:83], s[38:39]
	v_add_f64 v[126:127], v[128:129], v[126:127]
	v_fma_f64 v[128:129], v[62:63], s[22:23], v[161:162]
	v_mul_f64 v[136:137], v[74:75], s[38:39]
	v_mul_f64 v[159:160], v[60:61], s[38:39]
	v_add_f64 v[13:14], v[148:149], v[21:22]
	v_fma_f64 v[21:22], v[70:71], s[0:1], -v[153:154]
	v_add_f64 v[124:125], v[138:139], v[124:125]
	v_fma_f64 v[138:139], v[76:77], s[22:23], -v[173:174]
	v_fma_f64 v[148:149], v[52:53], s[14:15], -v[165:166]
	v_add_f64 v[120:121], v[130:131], v[120:121]
	v_add_f64 v[122:123], v[155:156], v[122:123]
	v_fma_f64 v[130:131], v[56:57], s[22:23], v[163:164]
	v_mul_f64 v[155:156], v[58:59], s[46:47]
	v_add_f64 v[25:26], v[142:143], v[25:26]
	v_add_f64 v[134:135], v[151:152], v[134:135]
	v_fma_f64 v[142:143], v[40:41], s[36:37], -v[146:147]
	v_fma_f64 v[146:147], v[72:73], s[22:23], v[157:158]
	v_fma_f64 v[151:152], v[88:89], s[22:23], -v[171:172]
	v_fma_f64 v[157:158], v[34:35], s[24:25], v[169:170]
	v_fma_f64 v[169:170], v[30:31], s[40:41], -v[144:145]
	v_add_f64 v[23:24], v[132:133], v[23:24]
	v_fma_f64 v[132:133], v[88:89], s[40:41], v[140:141]
	v_mul_f64 v[171:172], v[48:49], s[60:61]
	v_mul_f64 v[173:174], v[44:45], s[50:51]
	v_add_f64 v[108:109], v[15:16], v[108:109]
	v_add_f64 v[126:127], v[128:129], v[126:127]
	v_fma_f64 v[128:129], v[70:71], s[0:1], v[153:154]
	v_add_f64 v[21:22], v[21:22], v[19:20]
	v_fma_f64 v[161:162], v[72:73], s[40:41], -v[136:137]
	v_add_f64 v[124:125], v[138:139], v[124:125]
	v_fma_f64 v[138:139], v[80:81], s[0:1], -v[181:182]
	v_mul_f64 v[153:154], v[68:69], s[38:39]
	v_add_f64 v[122:123], v[148:149], v[122:123]
	v_add_f64 v[120:121], v[130:131], v[120:121]
	v_fma_f64 v[130:131], v[66:67], s[14:15], v[155:156]
	v_fma_f64 v[148:149], v[62:63], s[40:41], -v[159:160]
	v_add_f64 v[15:16], v[179:180], v[17:18]
	v_add_f64 v[106:107], v[142:143], v[106:107]
	v_fma_f64 v[142:143], v[42:43], s[24:25], -v[167:168]
	v_mul_f64 v[167:168], v[32:33], s[58:59]
	v_add_f64 v[17:18], v[146:147], v[25:26]
	v_add_f64 v[19:20], v[151:152], v[134:135]
	;; [unrolled: 1-line block ×4, first 2 shown]
	v_fma_f64 v[132:133], v[40:41], s[40:41], v[171:172]
	v_fma_f64 v[134:135], v[34:35], s[12:13], -v[173:174]
	v_mul_f64 v[146:147], v[50:51], s[50:51]
	v_add_f64 v[25:26], v[157:158], v[108:109]
	v_fma_f64 v[108:109], v[36:37], s[22:23], v[175:176]
	v_add_f64 v[126:127], v[128:129], v[126:127]
	v_mul_f64 v[128:129], v[38:39], s[46:47]
	v_add_f64 v[21:22], v[161:162], v[21:22]
	v_add_f64 v[124:125], v[138:139], v[124:125]
	v_fma_f64 v[138:139], v[30:31], s[40:41], v[144:145]
	v_fma_f64 v[144:145], v[40:41], s[40:41], -v[171:172]
	v_mul_f64 v[157:158], v[44:45], s[26:27]
	v_add_f64 v[120:121], v[130:131], v[120:121]
	v_add_f64 v[122:123], v[148:149], v[122:123]
	v_fma_f64 v[130:131], v[76:77], s[40:41], v[153:154]
	v_mul_f64 v[148:149], v[64:65], s[56:57]
	v_add_f64 v[106:107], v[142:143], v[106:107]
	v_fma_f64 v[142:143], v[30:31], s[24:25], -v[167:168]
	v_fma_f64 v[161:162], v[56:57], s[22:23], -v[163:164]
	;; [unrolled: 1-line block ×3, first 2 shown]
	v_mul_f64 v[151:152], v[48:49], s[58:59]
	v_fma_f64 v[136:137], v[72:73], s[40:41], v[136:137]
	v_add_f64 v[112:113], v[132:133], v[112:113]
	v_add_f64 v[118:119], v[134:135], v[118:119]
	v_fma_f64 v[132:133], v[42:43], s[12:13], v[146:147]
	v_mul_f64 v[134:135], v[46:47], s[46:47]
	v_add_f64 v[108:109], v[108:109], v[25:26]
	v_fma_f64 v[163:164], v[52:53], s[14:15], v[165:166]
	v_mul_f64 v[165:166], v[78:79], s[56:57]
	v_fma_f64 v[169:170], v[36:37], s[14:15], -v[128:129]
	v_mul_f64 v[171:172], v[54:55], s[34:35]
	v_add_f64 v[138:139], v[138:139], v[27:28]
	v_add_f64 v[110:111], v[144:145], v[110:111]
	v_fma_f64 v[144:145], v[34:35], s[12:13], v[173:174]
	v_fma_f64 v[146:147], v[42:43], s[12:13], -v[146:147]
	v_mul_f64 v[177:178], v[38:39], s[38:39]
	v_add_f64 v[120:121], v[130:131], v[120:121]
	v_fma_f64 v[130:131], v[70:71], s[30:31], -v[148:149]
	v_fma_f64 v[155:156], v[66:67], s[14:15], -v[155:156]
	v_add_f64 v[116:117], v[142:143], v[116:117]
	v_fma_f64 v[142:143], v[34:35], s[22:23], -v[157:158]
	v_add_f64 v[106:107], v[161:162], v[106:107]
	v_add_f64 v[27:28], v[140:141], v[124:125]
	v_fma_f64 v[173:174], v[40:41], s[24:25], v[151:152]
	v_mul_f64 v[175:176], v[50:51], s[26:27]
	v_add_f64 v[25:26], v[136:137], v[126:127]
	v_add_f64 v[112:113], v[132:133], v[112:113]
	v_fma_f64 v[124:125], v[56:57], s[14:15], v[134:135]
	v_fma_f64 v[136:137], v[62:63], s[40:41], v[159:160]
	v_add_f64 v[108:109], v[163:164], v[108:109]
	v_fma_f64 v[126:127], v[80:81], s[30:31], v[165:166]
	v_add_f64 v[118:119], v[169:170], v[118:119]
	v_fma_f64 v[132:133], v[52:53], s[36:37], -v[171:172]
	v_mul_f64 v[140:141], v[58:59], s[34:35]
	v_mul_f64 v[159:160], v[60:61], s[54:55]
	v_add_f64 v[138:139], v[144:145], v[138:139]
	v_add_f64 v[110:111], v[146:147], v[110:111]
	v_fma_f64 v[128:129], v[36:37], s[14:15], v[128:129]
	v_fma_f64 v[134:135], v[56:57], s[14:15], -v[134:135]
	v_mul_f64 v[161:162], v[54:55], s[54:55]
	v_fma_f64 v[153:154], v[76:77], s[40:41], -v[153:154]
	v_add_f64 v[122:123], v[130:131], v[122:123]
	v_add_f64 v[116:117], v[142:143], v[116:117]
	v_fma_f64 v[142:143], v[36:37], s[40:41], -v[177:178]
	v_add_f64 v[106:107], v[155:156], v[106:107]
	v_fma_f64 v[130:131], v[30:31], s[24:25], v[167:168]
	v_add_f64 v[114:115], v[173:174], v[114:115]
	v_fma_f64 v[144:145], v[42:43], s[22:23], v[175:176]
	v_mul_f64 v[146:147], v[46:47], s[38:39]
	v_add_f64 v[112:113], v[124:125], v[112:113]
	v_fma_f64 v[124:125], v[40:41], s[24:25], -v[151:152]
	v_add_f64 v[108:109], v[136:137], v[108:109]
	v_add_f64 v[120:121], v[126:127], v[120:121]
	v_fma_f64 v[126:127], v[70:71], s[30:31], v[148:149]
	v_add_f64 v[118:119], v[132:133], v[118:119]
	v_fma_f64 v[132:133], v[66:67], s[36:37], v[140:141]
	v_mul_f64 v[136:137], v[68:69], s[54:55]
	v_fma_f64 v[148:149], v[62:63], s[0:1], -v[159:160]
	v_mul_f64 v[151:152], v[64:65], s[26:27]
	v_add_f64 v[128:129], v[128:129], v[138:139]
	v_add_f64 v[110:111], v[134:135], v[110:111]
	v_fma_f64 v[134:135], v[52:53], s[36:37], v[171:172]
	v_fma_f64 v[138:139], v[66:67], s[36:37], -v[140:141]
	v_fma_f64 v[155:156], v[34:35], s[22:23], v[157:158]
	v_mul_f64 v[157:158], v[78:79], s[26:27]
	v_add_f64 v[116:117], v[142:143], v[116:117]
	v_fma_f64 v[142:143], v[52:53], s[0:1], -v[161:162]
	v_add_f64 v[106:107], v[153:154], v[106:107]
	v_mul_f64 v[153:154], v[32:33], s[48:49]
	v_add_f64 v[104:105], v[130:131], v[104:105]
	v_mul_f64 v[130:131], v[60:61], s[42:43]
	v_add_f64 v[114:115], v[144:145], v[114:115]
	v_add_f64 v[102:103], v[124:125], v[102:103]
	v_fma_f64 v[124:125], v[42:43], s[22:23], -v[175:176]
	v_fma_f64 v[140:141], v[56:57], s[40:41], v[146:147]
	v_mul_f64 v[144:145], v[58:59], s[54:55]
	v_add_f64 v[108:109], v[126:127], v[108:109]
	v_fma_f64 v[126:127], v[80:81], s[30:31], -v[165:166]
	v_add_f64 v[112:113], v[132:133], v[112:113]
	v_fma_f64 v[132:133], v[76:77], s[0:1], v[136:137]
	v_mul_f64 v[163:164], v[48:49], s[48:49]
	v_add_f64 v[118:119], v[148:149], v[118:119]
	v_fma_f64 v[148:149], v[70:71], s[22:23], -v[151:152]
	v_add_f64 v[128:129], v[134:135], v[128:129]
	v_add_f64 v[110:111], v[138:139], v[110:111]
	v_fma_f64 v[134:135], v[62:63], s[0:1], v[159:160]
	v_fma_f64 v[136:137], v[76:77], s[0:1], -v[136:137]
	v_mul_f64 v[159:160], v[44:45], s[44:45]
	v_add_f64 v[116:117], v[142:143], v[116:117]
	v_mul_f64 v[32:33], v[32:33], s[52:53]
	v_fma_f64 v[142:143], v[30:31], s[14:15], -v[153:154]
	v_add_f64 v[104:105], v[155:156], v[104:105]
	v_fma_f64 v[165:166], v[62:63], s[12:13], -v[130:131]
	v_mul_f64 v[155:156], v[64:65], s[34:35]
	v_mul_f64 v[48:49], v[48:49], s[52:53]
	v_add_f64 v[102:103], v[124:125], v[102:103]
	v_fma_f64 v[124:125], v[56:57], s[40:41], -v[146:147]
	v_add_f64 v[114:115], v[140:141], v[114:115]
	v_fma_f64 v[138:139], v[66:67], s[0:1], v[144:145]
	v_mul_f64 v[140:141], v[68:69], s[42:43]
	v_add_f64 v[106:107], v[126:127], v[106:107]
	v_add_f64 v[112:113], v[132:133], v[112:113]
	v_fma_f64 v[126:127], v[80:81], s[22:23], v[157:158]
	v_fma_f64 v[132:133], v[40:41], s[14:15], v[163:164]
	v_mul_f64 v[146:147], v[50:51], s[44:45]
	v_add_f64 v[118:119], v[148:149], v[118:119]
	v_mul_f64 v[148:149], v[38:39], s[56:57]
	v_add_f64 v[128:129], v[134:135], v[128:129]
	v_add_f64 v[110:111], v[136:137], v[110:111]
	v_fma_f64 v[134:135], v[70:71], s[22:23], v[151:152]
	v_fma_f64 v[136:137], v[80:81], s[22:23], -v[157:158]
	v_fma_f64 v[153:154], v[30:31], s[14:15], v[153:154]
	v_add_f64 v[98:99], v[142:143], v[98:99]
	v_fma_f64 v[142:143], v[34:35], s[0:1], -v[159:160]
	v_add_f64 v[116:117], v[165:166], v[116:117]
	v_fma_f64 v[151:152], v[70:71], s[36:37], -v[155:156]
	v_fma_f64 v[157:158], v[52:53], s[0:1], v[161:162]
	v_fma_f64 v[161:162], v[40:41], s[22:23], v[48:49]
	v_add_f64 v[102:103], v[124:125], v[102:103]
	v_fma_f64 v[124:125], v[66:67], s[0:1], -v[144:145]
	v_fma_f64 v[144:145], v[40:41], s[14:15], -v[163:164]
	v_add_f64 v[114:115], v[138:139], v[114:115]
	v_fma_f64 v[138:139], v[76:77], s[12:13], v[140:141]
	v_mul_f64 v[44:45], v[44:45], s[38:39]
	v_add_f64 v[112:113], v[126:127], v[112:113]
	v_fma_f64 v[126:127], v[30:31], s[22:23], -v[32:33]
	v_mul_f64 v[50:51], v[50:51], s[38:39]
	v_fma_f64 v[30:31], v[30:31], s[22:23], v[32:33]
	v_fma_f64 v[40:41], v[40:41], s[22:23], -v[48:49]
	v_add_f64 v[96:97], v[132:133], v[96:97]
	v_fma_f64 v[132:133], v[42:43], s[0:1], v[146:147]
	v_add_f64 v[128:129], v[134:135], v[128:129]
	v_add_f64 v[110:111], v[136:137], v[110:111]
	v_fma_f64 v[134:135], v[36:37], s[30:31], -v[148:149]
	v_mul_f64 v[136:137], v[46:47], s[56:57]
	v_add_f64 v[98:99], v[142:143], v[98:99]
	v_add_f64 v[90:91], v[153:154], v[90:91]
	;; [unrolled: 1-line block ×3, first 2 shown]
	v_fma_f64 v[116:117], v[34:35], s[0:1], v[159:160]
	v_mul_f64 v[32:33], v[74:75], s[50:51]
	v_add_f64 v[94:95], v[161:162], v[94:95]
	v_add_f64 v[102:103], v[124:125], v[102:103]
	;; [unrolled: 1-line block ×3, first 2 shown]
	v_fma_f64 v[124:125], v[42:43], s[0:1], -v[146:147]
	v_add_f64 v[114:115], v[138:139], v[114:115]
	v_mul_f64 v[38:39], v[38:39], s[50:51]
	v_mul_f64 v[46:47], v[46:47], s[50:51]
	v_add_f64 v[84:85], v[126:127], v[84:85]
	v_fma_f64 v[126:127], v[34:35], s[40:41], -v[44:45]
	v_fma_f64 v[138:139], v[42:43], s[40:41], v[50:51]
	v_add_f64 v[30:31], v[30:31], v[92:93]
	v_fma_f64 v[34:35], v[34:35], s[40:41], v[44:45]
	v_add_f64 v[40:41], v[40:41], v[100:101]
	v_fma_f64 v[42:43], v[42:43], s[40:41], -v[50:51]
	v_fma_f64 v[167:168], v[36:37], s[40:41], v[177:178]
	v_add_f64 v[96:97], v[132:133], v[96:97]
	v_mul_f64 v[50:51], v[54:55], s[26:27]
	v_add_f64 v[98:99], v[134:135], v[98:99]
	v_fma_f64 v[134:135], v[56:57], s[30:31], v[136:137]
	v_mul_f64 v[54:55], v[54:55], s[28:29]
	v_add_f64 v[90:91], v[116:117], v[90:91]
	v_mul_f64 v[116:117], v[58:59], s[26:27]
	v_fma_f64 v[92:93], v[72:73], s[12:13], -v[32:33]
	v_fma_f64 v[144:145], v[72:73], s[12:13], v[32:33]
	v_mul_f64 v[58:59], v[58:59], s[28:29]
	v_add_f64 v[86:87], v[124:125], v[86:87]
	v_fma_f64 v[124:125], v[56:57], s[30:31], -v[136:137]
	v_fma_f64 v[142:143], v[36:37], s[30:31], v[148:149]
	v_fma_f64 v[130:131], v[62:63], s[12:13], v[130:131]
	v_mul_f64 v[132:133], v[82:83], s[50:51]
	v_add_f64 v[32:33], v[126:127], v[84:85]
	v_add_f64 v[84:85], v[138:139], v[94:95]
	v_fma_f64 v[94:95], v[36:37], s[12:13], -v[38:39]
	v_fma_f64 v[126:127], v[56:57], s[12:13], v[46:47]
	v_add_f64 v[30:31], v[34:35], v[30:31]
	v_fma_f64 v[34:35], v[36:37], s[12:13], v[38:39]
	v_add_f64 v[40:41], v[42:43], v[40:41]
	v_fma_f64 v[42:43], v[56:57], s[12:13], -v[46:47]
	v_add_f64 v[104:105], v[167:168], v[104:105]
	v_fma_f64 v[46:47], v[52:53], s[22:23], -v[50:51]
	v_add_f64 v[38:39], v[134:135], v[96:97]
	v_mul_f64 v[134:135], v[60:61], s[34:35]
	v_mul_f64 v[60:61], v[60:61], s[48:49]
	v_fma_f64 v[56:57], v[66:67], s[22:23], v[116:117]
	v_fma_f64 v[116:117], v[66:67], s[22:23], -v[116:117]
	v_fma_f64 v[50:51], v[52:53], s[22:23], v[50:51]
	v_mul_f64 v[36:37], v[78:79], s[34:35]
	v_mul_f64 v[44:45], v[74:75], s[28:29]
	v_add_f64 v[86:87], v[124:125], v[86:87]
	v_mul_f64 v[124:125], v[68:69], s[34:35]
	v_mul_f64 v[68:69], v[68:69], s[48:49]
	v_add_f64 v[90:91], v[142:143], v[90:91]
	v_mul_f64 v[100:101], v[82:83], s[28:29]
	v_fma_f64 v[136:137], v[88:89], s[12:13], v[132:133]
	v_add_f64 v[32:33], v[94:95], v[32:33]
	v_add_f64 v[84:85], v[126:127], v[84:85]
	v_fma_f64 v[94:95], v[52:53], s[30:31], -v[54:55]
	v_fma_f64 v[126:127], v[66:67], s[30:31], v[58:59]
	v_add_f64 v[30:31], v[34:35], v[30:31]
	v_fma_f64 v[52:53], v[52:53], s[30:31], v[54:55]
	v_add_f64 v[40:41], v[42:43], v[40:41]
	v_fma_f64 v[42:43], v[66:67], s[30:31], -v[58:59]
	v_add_f64 v[104:105], v[157:158], v[104:105]
	v_fma_f64 v[58:59], v[76:77], s[12:13], -v[140:141]
	v_add_f64 v[46:47], v[46:47], v[98:99]
	v_add_f64 v[38:39], v[56:57], v[38:39]
	v_fma_f64 v[56:57], v[62:63], s[36:37], -v[134:135]
	v_mul_f64 v[98:99], v[64:65], s[50:51]
	v_mul_f64 v[140:141], v[78:79], s[50:51]
	;; [unrolled: 1-line block ×3, first 2 shown]
	v_add_f64 v[86:87], v[116:117], v[86:87]
	v_fma_f64 v[66:67], v[76:77], s[36:37], v[124:125]
	v_fma_f64 v[124:125], v[76:77], s[36:37], -v[124:125]
	v_mul_f64 v[78:79], v[78:79], s[20:21]
	v_add_f64 v[50:51], v[50:51], v[90:91]
	v_fma_f64 v[116:117], v[62:63], s[36:37], v[134:135]
	v_mul_f64 v[54:55], v[74:75], s[48:49]
	v_mul_f64 v[90:91], v[82:83], s[48:49]
	v_add_f64 v[32:33], v[94:95], v[32:33]
	v_add_f64 v[84:85], v[126:127], v[84:85]
	v_fma_f64 v[94:95], v[62:63], s[14:15], -v[60:61]
	v_fma_f64 v[126:127], v[76:77], s[14:15], v[68:69]
	v_add_f64 v[30:31], v[52:53], v[30:31]
	v_fma_f64 v[52:53], v[62:63], s[14:15], v[60:61]
	v_add_f64 v[40:41], v[42:43], v[40:41]
	v_fma_f64 v[42:43], v[76:77], s[14:15], -v[68:69]
	v_add_f64 v[104:105], v[130:131], v[104:105]
	v_fma_f64 v[60:61], v[70:71], s[36:37], v[155:156]
	v_add_f64 v[46:47], v[56:57], v[46:47]
	v_fma_f64 v[56:57], v[70:71], s[12:13], -v[98:99]
	v_fma_f64 v[62:63], v[80:81], s[12:13], v[140:141]
	v_mul_f64 v[68:69], v[82:83], s[20:21]
	v_fma_f64 v[34:35], v[80:81], s[36:37], v[36:37]
	v_add_f64 v[38:39], v[66:67], v[38:39]
	v_mul_f64 v[66:67], v[74:75], s[20:21]
	v_add_f64 v[58:59], v[58:59], v[102:103]
	v_add_f64 v[76:77], v[124:125], v[86:87]
	v_fma_f64 v[86:87], v[70:71], s[12:13], v[98:99]
	v_fma_f64 v[98:99], v[80:81], s[12:13], -v[140:141]
	v_fma_f64 v[102:103], v[80:81], s[24:25], v[78:79]
	v_mul_f64 v[74:75], v[74:75], s[54:55]
	v_mul_f64 v[82:83], v[82:83], s[54:55]
	v_add_f64 v[32:33], v[94:95], v[32:33]
	v_add_f64 v[84:85], v[126:127], v[84:85]
	v_fma_f64 v[94:95], v[70:71], s[24:25], -v[64:65]
	v_fma_f64 v[36:37], v[80:81], s[36:37], -v[36:37]
	v_add_f64 v[50:51], v[116:117], v[50:51]
	v_add_f64 v[30:31], v[52:53], v[30:31]
	v_fma_f64 v[52:53], v[70:71], s[24:25], v[64:65]
	v_add_f64 v[40:41], v[42:43], v[40:41]
	v_fma_f64 v[42:43], v[80:81], s[24:25], -v[78:79]
	v_fma_f64 v[70:71], v[72:73], s[14:15], -v[54:55]
	v_fma_f64 v[78:79], v[88:89], s[14:15], v[90:91]
	v_add_f64 v[60:61], v[60:61], v[104:105]
	v_fma_f64 v[54:55], v[72:73], s[14:15], v[54:55]
	v_fma_f64 v[80:81], v[88:89], s[14:15], -v[90:91]
	v_add_f64 v[56:57], v[56:57], v[46:47]
	v_add_f64 v[62:63], v[62:63], v[38:39]
	v_fma_f64 v[90:91], v[72:73], s[24:25], -v[66:67]
	v_fma_f64 v[104:105], v[88:89], s[24:25], v[68:69]
	v_fma_f64 v[138:139], v[72:73], s[30:31], -v[44:45]
	v_fma_f64 v[96:97], v[88:89], s[30:31], v[100:101]
	v_add_f64 v[64:65], v[34:35], v[114:115]
	v_add_f64 v[76:77], v[98:99], v[76:77]
	v_fma_f64 v[98:99], v[72:73], s[0:1], -v[74:75]
	v_add_f64 v[84:85], v[102:103], v[84:85]
	v_add_f64 v[94:95], v[94:95], v[32:33]
	v_fma_f64 v[102:103], v[88:89], s[0:1], v[82:83]
	v_fma_f64 v[44:45], v[72:73], s[30:31], v[44:45]
	v_add_f64 v[58:59], v[36:37], v[58:59]
	v_add_f64 v[86:87], v[86:87], v[50:51]
	v_fma_f64 v[66:67], v[72:73], s[24:25], v[66:67]
	v_fma_f64 v[68:69], v[88:89], s[24:25], -v[68:69]
	v_add_f64 v[114:115], v[52:53], v[30:31]
	v_fma_f64 v[72:73], v[72:73], s[0:1], v[74:75]
	v_add_f64 v[74:75], v[42:43], v[40:41]
	v_fma_f64 v[82:83], v[88:89], s[0:1], -v[82:83]
	v_fma_f64 v[100:101], v[88:89], s[30:31], -v[100:101]
	;; [unrolled: 1-line block ×3, first 2 shown]
	v_add_f64 v[46:47], v[70:71], v[48:49]
	v_mul_u32_u24_e32 v70, 0x2493, v0
	v_add_f64 v[30:31], v[92:93], v[122:123]
	v_add_f64 v[32:33], v[136:137], v[120:121]
	;; [unrolled: 1-line block ×4, first 2 shown]
	v_lshrrev_b32_e32 v70, 16, v70
	v_add_f64 v[56:57], v[104:105], v[62:63]
	v_add_f64 v[38:39], v[138:139], v[118:119]
	;; [unrolled: 1-line block ×9, first 2 shown]
	v_mul_lo_u16 v71, v70, 7
	v_add_f64 v[66:67], v[72:73], v[114:115]
	v_add_f64 v[42:43], v[44:45], v[128:129]
	;; [unrolled: 1-line block ×6, first 2 shown]
	ds_write_b128 v150, v[1:4]
	ds_write_b128 v150, v[5:8] offset:272
	ds_write_b128 v150, v[13:16] offset:544
	;; [unrolled: 1-line block ×3, first 2 shown]
	v_sub_nc_u16 v3, v0, v71
	v_mov_b32_e32 v6, 4
	ds_write_b128 v150, v[30:33] offset:1088
	ds_write_b128 v150, v[38:41] offset:1360
	;; [unrolled: 1-line block ×3, first 2 shown]
	v_and_b32_e32 v4, 0xffff, v3
	v_mul_lo_u16 v5, 0x122, v3
	ds_write_b128 v150, v[54:57] offset:1904
	ds_write_b128 v150, v[62:65] offset:2176
	;; [unrolled: 1-line block ×8, first 2 shown]
	v_mad_u64_u32 v[1:2], null, s16, v4, 0
	ds_write_b128 v150, v[17:20] offset:4080
	ds_write_b128 v150, v[9:12] offset:4352
	v_lshlrev_b32_sdwa v11, v6, v5 dst_sel:DWORD dst_unused:UNUSED_PAD src0_sel:DWORD src1_sel:WORD_0
	v_lshlrev_b32_e32 v12, 4, v70
	s_lshl_b64 s[0:1], s[4:5], 4
	v_mul_lo_u32 v28, s19, v70
	s_waitcnt lgkmcnt(0)
	v_mad_u64_u32 v[2:3], null, s17, v4, v[2:3]
	v_add3_u32 v3, 0, v11, v12
	s_barrier
	buffer_gl0_inv
	s_add_u32 s2, s2, s0
	s_addc_u32 s3, s3, s1
	ds_read_b128 v[3:6], v3
	s_lshl_b64 s[0:1], s[6:7], 4
	v_lshlrev_b64 v[1:2], 4, v[1:2]
	s_add_u32 s2, s2, s0
	s_addc_u32 s3, s3, s1
	s_lshl_b64 s[0:1], s[10:11], 4
	v_lshlrev_b64 v[7:8], 4, v[28:29]
	s_add_u32 s0, s2, s0
	s_addc_u32 s1, s3, s1
	v_add_co_u32 v1, vcc_lo, s0, v1
	s_mul_i32 s19, s19, 17
	v_add_co_ci_u32_e32 v2, vcc_lo, s1, v2, vcc_lo
	v_add_nc_u32_e32 v28, s19, v28
	v_add_co_u32 v7, vcc_lo, v1, v7
	v_add_co_ci_u32_e32 v8, vcc_lo, v2, v8, vcc_lo
	v_lshlrev_b64 v[9:10], 4, v[28:29]
	v_add_nc_u32_e32 v28, s19, v28
	s_mov_b32 s0, exec_lo
	s_waitcnt lgkmcnt(0)
	global_store_dwordx4 v[7:8], v[3:6], off
	v_add3_u32 v3, 0, v12, v11
	v_add_co_u32 v22, vcc_lo, v1, v9
	v_lshlrev_b64 v[20:21], 4, v[28:29]
	v_add_nc_u32_e32 v28, s19, v28
	v_add_co_ci_u32_e32 v23, vcc_lo, v2, v10, vcc_lo
	ds_read_b128 v[4:7], v3 offset:272
	ds_read_b128 v[8:11], v3 offset:544
	;; [unrolled: 1-line block ×4, first 2 shown]
	v_lshlrev_b64 v[24:25], 4, v[28:29]
	v_add_nc_u32_e32 v28, s19, v28
	v_add_co_u32 v20, vcc_lo, v1, v20
	v_add_co_ci_u32_e32 v21, vcc_lo, v2, v21, vcc_lo
	v_lshlrev_b64 v[26:27], 4, v[28:29]
	v_add_nc_u32_e32 v28, s19, v28
	v_add_co_u32 v24, vcc_lo, v1, v24
	v_add_co_ci_u32_e32 v25, vcc_lo, v2, v25, vcc_lo
	v_add_co_u32 v26, vcc_lo, v1, v26
	v_lshlrev_b64 v[30:31], 4, v[28:29]
	v_add_nc_u32_e32 v28, s19, v28
	v_add_co_ci_u32_e32 v27, vcc_lo, v2, v27, vcc_lo
	s_waitcnt lgkmcnt(3)
	global_store_dwordx4 v[22:23], v[4:7], off
	s_waitcnt lgkmcnt(2)
	global_store_dwordx4 v[20:21], v[8:11], off
	s_waitcnt lgkmcnt(1)
	global_store_dwordx4 v[24:25], v[12:15], off
	s_waitcnt lgkmcnt(0)
	global_store_dwordx4 v[26:27], v[16:19], off
	v_lshlrev_b64 v[20:21], 4, v[28:29]
	v_add_nc_u32_e32 v28, s19, v28
	ds_read_b128 v[4:7], v3 offset:1360
	ds_read_b128 v[8:11], v3 offset:1632
	;; [unrolled: 1-line block ×4, first 2 shown]
	v_add_co_u32 v22, vcc_lo, v1, v30
	v_lshlrev_b64 v[24:25], 4, v[28:29]
	v_add_nc_u32_e32 v28, s19, v28
	v_add_co_ci_u32_e32 v23, vcc_lo, v2, v31, vcc_lo
	v_add_co_u32 v20, vcc_lo, v1, v20
	v_lshlrev_b64 v[26:27], 4, v[28:29]
	v_add_co_ci_u32_e32 v21, vcc_lo, v2, v21, vcc_lo
	v_add_co_u32 v24, vcc_lo, v1, v24
	v_add_co_ci_u32_e32 v25, vcc_lo, v2, v25, vcc_lo
	v_add_nc_u32_e32 v28, s19, v28
	v_add_co_u32 v26, vcc_lo, v1, v26
	v_add_co_ci_u32_e32 v27, vcc_lo, v2, v27, vcc_lo
	v_lshlrev_b64 v[30:31], 4, v[28:29]
	v_add_nc_u32_e32 v28, s19, v28
	s_waitcnt lgkmcnt(3)
	global_store_dwordx4 v[22:23], v[4:7], off
	s_waitcnt lgkmcnt(2)
	global_store_dwordx4 v[20:21], v[8:11], off
	;; [unrolled: 2-line block ×4, first 2 shown]
	ds_read_b128 v[4:7], v3 offset:2448
	ds_read_b128 v[8:11], v3 offset:2720
	;; [unrolled: 1-line block ×4, first 2 shown]
	v_lshlrev_b64 v[20:21], 4, v[28:29]
	v_add_nc_u32_e32 v28, s19, v28
	v_add_co_u32 v22, vcc_lo, v1, v30
	v_add_co_ci_u32_e32 v23, vcc_lo, v2, v31, vcc_lo
	v_lshlrev_b64 v[24:25], 4, v[28:29]
	v_add_nc_u32_e32 v28, s19, v28
	v_add_co_u32 v20, vcc_lo, v1, v20
	v_add_co_ci_u32_e32 v21, vcc_lo, v2, v21, vcc_lo
	v_lshlrev_b64 v[26:27], 4, v[28:29]
	v_add_nc_u32_e32 v28, s19, v28
	v_add_co_u32 v24, vcc_lo, v1, v24
	v_add_co_ci_u32_e32 v25, vcc_lo, v2, v25, vcc_lo
	s_waitcnt lgkmcnt(3)
	global_store_dwordx4 v[22:23], v[4:7], off
	v_lshlrev_b64 v[4:5], 4, v[28:29]
	v_add_co_u32 v26, vcc_lo, v1, v26
	v_add_co_ci_u32_e32 v27, vcc_lo, v2, v27, vcc_lo
	v_add_nc_u32_e32 v28, s19, v28
	s_waitcnt lgkmcnt(2)
	global_store_dwordx4 v[20:21], v[8:11], off
	s_waitcnt lgkmcnt(1)
	global_store_dwordx4 v[24:25], v[12:15], off
	;; [unrolled: 2-line block ×3, first 2 shown]
	v_add_co_u32 v20, vcc_lo, v1, v4
	v_add_co_ci_u32_e32 v21, vcc_lo, v2, v5, vcc_lo
	v_lshlrev_b64 v[22:23], 4, v[28:29]
	v_add_nc_u32_e32 v28, s19, v28
	ds_read_b128 v[4:7], v3 offset:3536
	ds_read_b128 v[8:11], v3 offset:3808
	ds_read_b128 v[12:15], v3 offset:4080
	ds_read_b128 v[16:19], v3 offset:4352
	v_lshlrev_b64 v[24:25], 4, v[28:29]
	v_add_nc_u32_e32 v28, s19, v28
	v_add_co_u32 v22, vcc_lo, v1, v22
	v_add_co_ci_u32_e32 v23, vcc_lo, v2, v23, vcc_lo
	v_lshlrev_b64 v[26:27], 4, v[28:29]
	v_add_co_u32 v24, vcc_lo, v1, v24
	v_add_co_ci_u32_e32 v25, vcc_lo, v2, v25, vcc_lo
	v_add_co_u32 v26, vcc_lo, v1, v26
	v_add_co_ci_u32_e32 v27, vcc_lo, v2, v27, vcc_lo
	s_waitcnt lgkmcnt(3)
	global_store_dwordx4 v[20:21], v[4:7], off
	s_waitcnt lgkmcnt(2)
	global_store_dwordx4 v[22:23], v[8:11], off
	;; [unrolled: 2-line block ×4, first 2 shown]
	v_cmpx_gt_u32_e32 7, v0
	s_cbranch_execz .LBB0_2
; %bb.1:
	ds_read_b128 v[3:6], v3 offset:4624
	v_add_nc_u32_e32 v28, s19, v28
	v_lshlrev_b64 v[7:8], 4, v[28:29]
	v_add_co_u32 v0, vcc_lo, v1, v7
	v_add_co_ci_u32_e32 v1, vcc_lo, v2, v8, vcc_lo
	s_waitcnt lgkmcnt(0)
	global_store_dwordx4 v[0:1], v[3:6], off
.LBB0_2:
	s_endpgm
	.section	.rodata,"a",@progbits
	.p2align	6, 0x0
	.amdhsa_kernel fft_rtc_fwd_len289_factors_17_17_wgs_119_tpt_17_dp_op_CI_CI_sbrc_erc_z_xy_aligned_dirReg
		.amdhsa_group_segment_fixed_size 0
		.amdhsa_private_segment_fixed_size 0
		.amdhsa_kernarg_size 104
		.amdhsa_user_sgpr_count 6
		.amdhsa_user_sgpr_private_segment_buffer 1
		.amdhsa_user_sgpr_dispatch_ptr 0
		.amdhsa_user_sgpr_queue_ptr 0
		.amdhsa_user_sgpr_kernarg_segment_ptr 1
		.amdhsa_user_sgpr_dispatch_id 0
		.amdhsa_user_sgpr_flat_scratch_init 0
		.amdhsa_user_sgpr_private_segment_size 0
		.amdhsa_wavefront_size32 1
		.amdhsa_uses_dynamic_stack 0
		.amdhsa_system_sgpr_private_segment_wavefront_offset 0
		.amdhsa_system_sgpr_workgroup_id_x 1
		.amdhsa_system_sgpr_workgroup_id_y 0
		.amdhsa_system_sgpr_workgroup_id_z 0
		.amdhsa_system_sgpr_workgroup_info 0
		.amdhsa_system_vgpr_workitem_id 0
		.amdhsa_next_free_vgpr 210
		.amdhsa_next_free_sgpr 65
		.amdhsa_reserve_vcc 1
		.amdhsa_reserve_flat_scratch 0
		.amdhsa_float_round_mode_32 0
		.amdhsa_float_round_mode_16_64 0
		.amdhsa_float_denorm_mode_32 3
		.amdhsa_float_denorm_mode_16_64 3
		.amdhsa_dx10_clamp 1
		.amdhsa_ieee_mode 1
		.amdhsa_fp16_overflow 0
		.amdhsa_workgroup_processor_mode 1
		.amdhsa_memory_ordered 1
		.amdhsa_forward_progress 0
		.amdhsa_shared_vgpr_count 0
		.amdhsa_exception_fp_ieee_invalid_op 0
		.amdhsa_exception_fp_denorm_src 0
		.amdhsa_exception_fp_ieee_div_zero 0
		.amdhsa_exception_fp_ieee_overflow 0
		.amdhsa_exception_fp_ieee_underflow 0
		.amdhsa_exception_fp_ieee_inexact 0
		.amdhsa_exception_int_div_zero 0
	.end_amdhsa_kernel
	.text
.Lfunc_end0:
	.size	fft_rtc_fwd_len289_factors_17_17_wgs_119_tpt_17_dp_op_CI_CI_sbrc_erc_z_xy_aligned_dirReg, .Lfunc_end0-fft_rtc_fwd_len289_factors_17_17_wgs_119_tpt_17_dp_op_CI_CI_sbrc_erc_z_xy_aligned_dirReg
                                        ; -- End function
	.section	.AMDGPU.csdata,"",@progbits
; Kernel info:
; codeLenInByte = 17192
; NumSgprs: 67
; NumVgprs: 210
; ScratchSize: 0
; MemoryBound: 0
; FloatMode: 240
; IeeeMode: 1
; LDSByteSize: 0 bytes/workgroup (compile time only)
; SGPRBlocks: 8
; VGPRBlocks: 26
; NumSGPRsForWavesPerEU: 67
; NumVGPRsForWavesPerEU: 210
; Occupancy: 4
; WaveLimiterHint : 1
; COMPUTE_PGM_RSRC2:SCRATCH_EN: 0
; COMPUTE_PGM_RSRC2:USER_SGPR: 6
; COMPUTE_PGM_RSRC2:TRAP_HANDLER: 0
; COMPUTE_PGM_RSRC2:TGID_X_EN: 1
; COMPUTE_PGM_RSRC2:TGID_Y_EN: 0
; COMPUTE_PGM_RSRC2:TGID_Z_EN: 0
; COMPUTE_PGM_RSRC2:TIDIG_COMP_CNT: 0
	.text
	.p2alignl 6, 3214868480
	.fill 48, 4, 3214868480
	.type	__hip_cuid_bcfd78c890a51043,@object ; @__hip_cuid_bcfd78c890a51043
	.section	.bss,"aw",@nobits
	.globl	__hip_cuid_bcfd78c890a51043
__hip_cuid_bcfd78c890a51043:
	.byte	0                               ; 0x0
	.size	__hip_cuid_bcfd78c890a51043, 1

	.ident	"AMD clang version 19.0.0git (https://github.com/RadeonOpenCompute/llvm-project roc-6.4.0 25133 c7fe45cf4b819c5991fe208aaa96edf142730f1d)"
	.section	".note.GNU-stack","",@progbits
	.addrsig
	.addrsig_sym __hip_cuid_bcfd78c890a51043
	.amdgpu_metadata
---
amdhsa.kernels:
  - .args:
      - .actual_access:  read_only
        .address_space:  global
        .offset:         0
        .size:           8
        .value_kind:     global_buffer
      - .offset:         8
        .size:           8
        .value_kind:     by_value
      - .actual_access:  read_only
        .address_space:  global
        .offset:         16
        .size:           8
        .value_kind:     global_buffer
      - .actual_access:  read_only
        .address_space:  global
        .offset:         24
        .size:           8
        .value_kind:     global_buffer
      - .actual_access:  read_only
        .address_space:  global
        .offset:         32
        .size:           8
        .value_kind:     global_buffer
      - .offset:         40
        .size:           8
        .value_kind:     by_value
      - .actual_access:  read_only
        .address_space:  global
        .offset:         48
        .size:           8
        .value_kind:     global_buffer
      - .actual_access:  read_only
        .address_space:  global
        .offset:         56
        .size:           8
        .value_kind:     global_buffer
      - .offset:         64
        .size:           4
        .value_kind:     by_value
      - .actual_access:  read_only
        .address_space:  global
        .offset:         72
        .size:           8
        .value_kind:     global_buffer
      - .actual_access:  read_only
        .address_space:  global
        .offset:         80
        .size:           8
        .value_kind:     global_buffer
      - .actual_access:  read_only
        .address_space:  global
        .offset:         88
        .size:           8
        .value_kind:     global_buffer
      - .actual_access:  write_only
        .address_space:  global
        .offset:         96
        .size:           8
        .value_kind:     global_buffer
    .group_segment_fixed_size: 0
    .kernarg_segment_align: 8
    .kernarg_segment_size: 104
    .language:       OpenCL C
    .language_version:
      - 2
      - 0
    .max_flat_workgroup_size: 119
    .name:           fft_rtc_fwd_len289_factors_17_17_wgs_119_tpt_17_dp_op_CI_CI_sbrc_erc_z_xy_aligned_dirReg
    .private_segment_fixed_size: 0
    .sgpr_count:     67
    .sgpr_spill_count: 0
    .symbol:         fft_rtc_fwd_len289_factors_17_17_wgs_119_tpt_17_dp_op_CI_CI_sbrc_erc_z_xy_aligned_dirReg.kd
    .uniform_work_group_size: 1
    .uses_dynamic_stack: false
    .vgpr_count:     210
    .vgpr_spill_count: 0
    .wavefront_size: 32
    .workgroup_processor_mode: 1
amdhsa.target:   amdgcn-amd-amdhsa--gfx1030
amdhsa.version:
  - 1
  - 2
...

	.end_amdgpu_metadata
